;; amdgpu-corpus repo=ROCm/rocFFT kind=compiled arch=gfx1201 opt=O3
	.text
	.amdgcn_target "amdgcn-amd-amdhsa--gfx1201"
	.amdhsa_code_object_version 6
	.protected	bluestein_single_fwd_len1600_dim1_half_op_CI_CI ; -- Begin function bluestein_single_fwd_len1600_dim1_half_op_CI_CI
	.globl	bluestein_single_fwd_len1600_dim1_half_op_CI_CI
	.p2align	8
	.type	bluestein_single_fwd_len1600_dim1_half_op_CI_CI,@function
bluestein_single_fwd_len1600_dim1_half_op_CI_CI: ; @bluestein_single_fwd_len1600_dim1_half_op_CI_CI
; %bb.0:
	s_load_b128 s[12:15], s[0:1], 0x28
	v_mul_u32_u24_e32 v1, 0x290, v0
	v_mov_b32_e32 v34, 0
	s_mov_b32 s2, exec_lo
	s_delay_alu instid0(VALU_DEP_2) | instskip(NEXT) | instid1(VALU_DEP_1)
	v_lshrrev_b32_e32 v2, 16, v1
	v_lshl_add_u32 v33, ttmp9, 1, v2
	s_wait_kmcnt 0x0
	s_delay_alu instid0(VALU_DEP_1)
	v_cmpx_gt_u64_e64 s[12:13], v[33:34]
	s_cbranch_execz .LBB0_23
; %bb.1:
	s_clause 0x1
	s_load_b128 s[4:7], s[0:1], 0x18
	s_load_b64 s[12:13], s[0:1], 0x0
	v_mul_lo_u16 v1, 0x64, v2
	s_delay_alu instid0(VALU_DEP_1) | instskip(NEXT) | instid1(VALU_DEP_1)
	v_sub_nc_u16 v14, v0, v1
	v_and_b32_e32 v70, 0xffff, v14
	s_delay_alu instid0(VALU_DEP_1)
	v_or_b32_e32 v55, 0x500, v70
	s_wait_kmcnt 0x0
	s_load_b128 s[8:11], s[4:5], 0x0
	s_wait_kmcnt 0x0
	v_mad_co_u64_u32 v[0:1], null, s10, v33, 0
	v_mad_co_u64_u32 v[7:8], null, s8, v55, 0
	s_mul_u64 s[2:3], s[8:9], 0xa0
	s_delay_alu instid0(SALU_CYCLE_1) | instskip(SKIP_1) | instid1(VALU_DEP_2)
	s_lshl_b64 s[16:17], s[2:3], 2
	s_mul_i32 s2, s9, 0x500
	v_mad_co_u64_u32 v[9:10], null, s11, v33, v[1:2]
	s_delay_alu instid0(VALU_DEP_2) | instskip(SKIP_3) | instid1(VALU_DEP_2)
	v_mov_b32_e32 v1, v8
	v_or_b32_e32 v61, 0x280, v70
	v_mad_co_u64_u32 v[3:4], null, s8, v70, 0
	s_load_b64 s[10:11], s[0:1], 0x38
	v_mad_co_u64_u32 v[5:6], null, s8, v61, 0
	s_delay_alu instid0(VALU_DEP_1) | instskip(NEXT) | instid1(VALU_DEP_2)
	v_mad_co_u64_u32 v[10:11], null, s9, v70, v[4:5]
	v_mad_co_u64_u32 v[11:12], null, s9, v61, v[6:7]
	;; [unrolled: 1-line block ×3, first 2 shown]
	v_mov_b32_e32 v1, v9
	s_delay_alu instid0(VALU_DEP_4)
	v_dual_mov_b32 v4, v10 :: v_dual_lshlrev_b32 v15, 2, v70
	s_clause 0x7
	global_load_b32 v74, v15, s[12:13]
	global_load_b32 v73, v15, s[12:13] offset:640
	global_load_b32 v72, v15, s[12:13] offset:1280
	;; [unrolled: 1-line block ×7, first 2 shown]
	v_mov_b32_e32 v6, v11
	v_lshlrev_b64_e32 v[0:1], 2, v[0:1]
	v_mov_b32_e32 v8, v12
	v_lshlrev_b64_e32 v[3:4], 2, v[3:4]
	s_clause 0x1
	global_load_b32 v58, v15, s[12:13] offset:5120
	global_load_b32 v56, v15, s[12:13] offset:5760
	v_lshlrev_b64_e32 v[5:6], 2, v[5:6]
	v_and_b32_e32 v2, 1, v2
	v_add_co_u32 v9, vcc_lo, s14, v0
	v_add_co_ci_u32_e32 v10, vcc_lo, s15, v1, vcc_lo
	v_lshlrev_b64_e32 v[0:1], 2, v[7:8]
	s_delay_alu instid0(VALU_DEP_3) | instskip(SKIP_1) | instid1(VALU_DEP_3)
	v_add_co_u32 v3, vcc_lo, v9, v3
	s_wait_alu 0xfffd
	v_add_co_ci_u32_e32 v4, vcc_lo, v10, v4, vcc_lo
	s_delay_alu instid0(VALU_DEP_3)
	v_add_co_u32 v0, vcc_lo, v9, v0
	s_wait_alu 0xfffd
	v_add_co_ci_u32_e32 v1, vcc_lo, v10, v1, vcc_lo
	v_add_co_u32 v7, vcc_lo, v3, s16
	s_wait_alu 0xfffd
	v_add_co_ci_u32_e32 v8, vcc_lo, s17, v4, vcc_lo
	s_clause 0x2
	global_load_b32 v11, v[3:4], off
	global_load_b32 v13, v[7:8], off
	global_load_b32 v12, v[0:1], off
	v_add_co_u32 v3, vcc_lo, v7, s16
	s_wait_alu 0xfffd
	v_add_co_ci_u32_e32 v4, vcc_lo, s17, v8, vcc_lo
	s_delay_alu instid0(VALU_DEP_2) | instskip(SKIP_1) | instid1(VALU_DEP_2)
	v_add_co_u32 v0, vcc_lo, v3, s16
	s_wait_alu 0xfffd
	v_add_co_ci_u32_e32 v1, vcc_lo, s17, v4, vcc_lo
	global_load_b32 v16, v[3:4], off
	v_add_co_u32 v3, vcc_lo, v9, v5
	v_mad_co_u64_u32 v[7:8], null, 0x500, s8, v[0:1]
	s_wait_alu 0xfffd
	v_add_co_ci_u32_e32 v4, vcc_lo, v10, v6, vcc_lo
	s_clause 0x1
	global_load_b32 v9, v[0:1], off
	global_load_b32 v10, v[3:4], off
	v_add_nc_u32_e32 v8, s2, v8
	v_add_co_u32 v5, vcc_lo, v7, s16
	s_wait_alu 0xfffd
	s_delay_alu instid0(VALU_DEP_2) | instskip(NEXT) | instid1(VALU_DEP_2)
	v_add_co_ci_u32_e32 v6, vcc_lo, s17, v8, vcc_lo
	v_add_co_u32 v3, vcc_lo, v5, s16
	global_load_b32 v7, v[7:8], off
	global_load_b32 v5, v[5:6], off
	s_wait_alu 0xfffd
	v_add_co_ci_u32_e32 v4, vcc_lo, s17, v6, vcc_lo
	v_cmp_eq_u32_e32 vcc_lo, 1, v2
	s_delay_alu instid0(VALU_DEP_2) | instskip(SKIP_3) | instid1(VALU_DEP_2)
	v_mad_co_u64_u32 v[0:1], null, 0x500, s8, v[3:4]
	s_wait_alu 0xfffd
	v_cndmask_b32_e64 v78, 0, 0x1900, vcc_lo
	v_cmp_gt_u16_e32 vcc_lo, 60, v14
	v_add_nc_u32_e32 v54, v78, v15
	s_delay_alu instid0(VALU_DEP_4)
	v_add_nc_u32_e32 v1, s2, v1
	global_load_b32 v6, v[3:4], off
	global_load_b32 v8, v[0:1], off
	v_add_co_u32 v31, s2, s12, v15
	s_load_b128 s[4:7], s[6:7], 0x0
	v_add_co_ci_u32_e64 v32, null, s13, 0, s2
	v_add_nc_u32_e32 v2, 0x400, v54
	v_add_nc_u32_e32 v3, 0xa00, v54
	;; [unrolled: 1-line block ×3, first 2 shown]
	s_wait_loadcnt 0x13
	v_lshrrev_b32_e32 v77, 16, v74
	s_wait_loadcnt 0x12
	v_lshrrev_b32_e32 v76, 16, v73
	s_wait_loadcnt 0x11
	v_lshrrev_b32_e32 v75, 16, v72
	s_wait_loadcnt 0x10
	v_lshrrev_b32_e32 v71, 16, v69
	s_wait_loadcnt 0xf
	v_lshrrev_b32_e32 v68, 16, v67
	s_wait_loadcnt 0xe
	v_lshrrev_b32_e32 v66, 16, v65
	s_wait_loadcnt 0xd
	v_lshrrev_b32_e32 v64, 16, v63
	s_wait_loadcnt 0xc
	v_lshrrev_b32_e32 v62, 16, v60
	s_wait_loadcnt 0xb
	v_lshrrev_b32_e32 v59, 16, v58
	s_wait_loadcnt 0xa
	v_lshrrev_b32_e32 v57, 16, v56
	s_wait_loadcnt 0x9
	v_lshrrev_b32_e32 v15, 16, v11
	v_mul_f16_e32 v17, v77, v11
	s_wait_loadcnt 0x8
	v_mul_f16_e32 v21, v76, v13
	s_wait_loadcnt 0x7
	v_lshrrev_b32_e32 v18, 16, v12
	v_mul_f16_e32 v20, v77, v15
	v_fma_f16 v15, v74, v15, -v17
	v_lshrrev_b32_e32 v17, 16, v13
	v_mul_f16_e32 v19, v59, v12
	v_mul_f16_e32 v22, v59, v18
	v_fmac_f16_e32 v20, v74, v11
	s_delay_alu instid0(VALU_DEP_4) | instskip(NEXT) | instid1(VALU_DEP_4)
	v_mul_f16_e32 v11, v76, v17
	v_fma_f16 v18, v58, v18, -v19
	v_fma_f16 v17, v73, v17, -v21
	s_wait_loadcnt 0x6
	v_lshrrev_b32_e32 v19, 16, v16
	v_mul_f16_e32 v21, v75, v16
	v_fmac_f16_e32 v11, v73, v13
	v_fmac_f16_e32 v22, v58, v12
	v_pack_b32_f16 v12, v20, v15
	v_mul_f16_e32 v13, v75, v19
	v_fma_f16 v15, v72, v19, -v21
	s_wait_loadcnt 0x5
	v_lshrrev_b32_e32 v19, 16, v9
	v_mul_f16_e32 v20, v71, v9
	s_wait_loadcnt 0x4
	v_lshrrev_b32_e32 v21, 16, v10
	v_pack_b32_f16 v11, v11, v17
	v_fmac_f16_e32 v13, v72, v16
	v_mul_f16_e32 v16, v71, v19
	v_fma_f16 v17, v69, v19, -v20
	v_mul_f16_e32 v19, v68, v21
	ds_store_2addr_b32 v54, v12, v11 offset1:160
	v_mul_f16_e32 v23, v68, v10
	v_fmac_f16_e32 v16, v69, v9
	s_wait_loadcnt 0x3
	v_lshrrev_b32_e32 v11, 16, v7
	v_mul_f16_e32 v12, v66, v7
	v_fmac_f16_e32 v19, v67, v10
	v_pack_b32_f16 v9, v13, v15
	s_wait_loadcnt 0x2
	v_lshrrev_b32_e32 v15, 16, v5
	v_mul_f16_e32 v10, v66, v11
	v_fma_f16 v11, v65, v11, -v12
	v_mul_f16_e32 v12, v64, v5
	v_pack_b32_f16 v13, v16, v17
	v_fma_f16 v20, v67, v21, -v23
	v_fmac_f16_e32 v10, v65, v7
	v_mul_f16_e32 v16, v64, v15
	v_fma_f16 v12, v63, v15, -v12
	v_pack_b32_f16 v18, v22, v18
	s_delay_alu instid0(VALU_DEP_3)
	v_fmac_f16_e32 v16, v63, v5
	s_wait_loadcnt 0x1
	v_lshrrev_b32_e32 v7, 16, v6
	s_wait_loadcnt 0x0
	v_lshrrev_b32_e32 v17, 16, v8
	v_mul_f16_e32 v15, v62, v6
	v_mul_f16_e32 v22, v57, v8
	;; [unrolled: 1-line block ×3, first 2 shown]
	s_delay_alu instid0(VALU_DEP_4) | instskip(NEXT) | instid1(VALU_DEP_4)
	v_mul_f16_e32 v23, v57, v17
	v_fma_f16 v5, v60, v7, -v15
	v_pack_b32_f16 v7, v19, v20
	s_delay_alu instid0(VALU_DEP_4)
	v_fmac_f16_e32 v21, v60, v6
	v_fma_f16 v6, v56, v17, -v22
	v_fmac_f16_e32 v23, v56, v8
	v_pack_b32_f16 v8, v10, v11
	v_pack_b32_f16 v10, v16, v12
	;; [unrolled: 1-line block ×3, first 2 shown]
	v_add_nc_u32_e32 v5, 0x1400, v54
	v_pack_b32_f16 v6, v23, v6
	ds_store_2addr_b32 v2, v9, v13 offset0:64 offset1:224
	ds_store_2addr_b32 v3, v7, v8 offset1:160
	ds_store_2addr_b32 v4, v10, v11 offset0:64 offset1:224
	ds_store_2addr_b32 v5, v18, v6 offset1:160
	s_and_saveexec_b32 s3, vcc_lo
	s_cbranch_execz .LBB0_3
; %bb.2:
	v_mad_co_u64_u32 v[0:1], null, 0xffffeb10, s8, v[0:1]
	s_mul_i32 s2, s9, 0xffffeb10
	v_add_nc_u32_e32 v26, 0xb00, v54
	s_wait_alu 0xfffe
	s_sub_co_i32 s2, s2, s8
	v_add_nc_u32_e32 v27, 0x1000, v54
	s_wait_alu 0xfffe
	s_delay_alu instid0(VALU_DEP_3) | instskip(SKIP_2) | instid1(VALU_DEP_2)
	v_add_nc_u32_e32 v1, s2, v1
	v_add_co_u32 v6, s2, v0, s16
	s_wait_alu 0xf1ff
	v_add_co_ci_u32_e64 v7, s2, s17, v1, s2
	s_clause 0x7
	global_load_b32 v8, v[31:32], off offset:400
	global_load_b32 v9, v[31:32], off offset:1040
	;; [unrolled: 1-line block ×8, first 2 shown]
	global_load_b32 v16, v[0:1], off
	global_load_b32 v17, v[6:7], off
	global_load_b32 v18, v[31:32], off offset:5520
	v_add_co_u32 v0, s2, v6, s16
	s_wait_alu 0xf1ff
	v_add_co_ci_u32_e64 v1, s2, s17, v7, s2
	global_load_b32 v19, v[31:32], off offset:6160
	v_add_co_u32 v6, s2, v0, s16
	s_wait_alu 0xf1ff
	v_add_co_ci_u32_e64 v7, s2, s17, v1, s2
	global_load_b32 v20, v[0:1], off
	global_load_b32 v21, v[6:7], off
	v_add_co_u32 v0, s2, v6, s16
	s_wait_alu 0xf1ff
	v_add_co_ci_u32_e64 v1, s2, s17, v7, s2
	s_delay_alu instid0(VALU_DEP_2) | instskip(SKIP_1) | instid1(VALU_DEP_2)
	v_add_co_u32 v6, s2, v0, s16
	s_wait_alu 0xf1ff
	v_add_co_ci_u32_e64 v7, s2, s17, v1, s2
	global_load_b32 v22, v[0:1], off
	v_add_co_u32 v0, s2, v6, s16
	s_wait_alu 0xf1ff
	v_add_co_ci_u32_e64 v1, s2, s17, v7, s2
	global_load_b32 v23, v[6:7], off
	;; [unrolled: 4-line block ×5, first 2 shown]
	global_load_b32 v1, v[6:7], off
	v_add_nc_u32_e32 v6, 0x100, v54
	v_add_nc_u32_e32 v7, 0x600, v54
	s_wait_loadcnt 0x13
	v_lshrrev_b32_e32 v28, 16, v8
	s_wait_loadcnt 0x12
	v_lshrrev_b32_e32 v29, 16, v9
	;; [unrolled: 2-line block ×9, first 2 shown]
	v_mul_f16_e32 v41, v28, v16
	s_wait_loadcnt 0xa
	v_lshrrev_b32_e32 v42, 16, v17
	v_mul_f16_e32 v44, v29, v17
	s_wait_loadcnt 0x9
	v_lshrrev_b32_e32 v40, 16, v18
	v_mul_f16_e32 v28, v28, v37
	v_fma_f16 v37, v8, v37, -v41
	s_wait_loadcnt 0x8
	v_lshrrev_b32_e32 v43, 16, v19
	s_delay_alu instid0(VALU_DEP_3)
	v_fmac_f16_e32 v28, v8, v16
	v_mul_f16_e32 v8, v29, v42
	v_fma_f16 v29, v9, v42, -v44
	s_wait_loadcnt 0x7
	v_lshrrev_b32_e32 v16, 16, v20
	v_mul_f16_e32 v41, v30, v20
	v_pack_b32_f16 v28, v28, v37
	v_fmac_f16_e32 v8, v9, v17
	s_wait_loadcnt 0x6
	v_lshrrev_b32_e32 v17, 16, v21
	v_mul_f16_e32 v9, v30, v16
	v_fma_f16 v16, v10, v16, -v41
	v_mul_f16_e32 v30, v34, v21
	v_pack_b32_f16 v8, v8, v29
	s_delay_alu instid0(VALU_DEP_4)
	v_fmac_f16_e32 v9, v10, v20
	v_mul_f16_e32 v10, v34, v17
	s_wait_loadcnt 0x5
	v_lshrrev_b32_e32 v20, 16, v22
	v_mul_f16_e32 v29, v35, v22
	v_fma_f16 v17, v11, v17, -v30
	v_pack_b32_f16 v9, v9, v16
	v_fmac_f16_e32 v10, v11, v21
	v_mul_f16_e32 v11, v35, v20
	v_fma_f16 v16, v12, v20, -v29
	s_wait_loadcnt 0x4
	v_lshrrev_b32_e32 v20, 16, v23
	v_mul_f16_e32 v21, v36, v23
	v_pack_b32_f16 v10, v10, v17
	v_fmac_f16_e32 v11, v12, v22
	s_wait_loadcnt 0x3
	v_lshrrev_b32_e32 v12, 16, v24
	v_mul_f16_e32 v17, v36, v20
	v_fma_f16 v20, v13, v20, -v21
	v_mul_f16_e32 v21, v38, v24
	v_pack_b32_f16 v11, v11, v16
	v_mul_f16_e32 v16, v38, v12
	v_fmac_f16_e32 v17, v13, v23
	s_wait_loadcnt 0x2
	v_lshrrev_b32_e32 v13, 16, v25
	v_fma_f16 v12, v14, v12, -v21
	v_mul_f16_e32 v21, v39, v25
	v_fmac_f16_e32 v16, v14, v24
	s_wait_loadcnt 0x1
	v_lshrrev_b32_e32 v14, 16, v0
	s_wait_loadcnt 0x0
	v_lshrrev_b32_e32 v23, 16, v1
	v_mul_f16_e32 v22, v39, v13
	v_fma_f16 v13, v15, v13, -v21
	v_mul_f16_e32 v21, v40, v0
	v_mul_f16_e32 v24, v40, v14
	;; [unrolled: 1-line block ×4, first 2 shown]
	v_fmac_f16_e32 v22, v15, v25
	v_fma_f16 v14, v18, v14, -v21
	v_fmac_f16_e32 v24, v18, v0
	v_fma_f16 v0, v19, v23, -v29
	v_fmac_f16_e32 v30, v19, v1
	v_pack_b32_f16 v1, v17, v20
	v_pack_b32_f16 v12, v16, v12
	;; [unrolled: 1-line block ×5, first 2 shown]
	v_add_nc_u32_e32 v15, 0x1500, v54
	ds_store_2addr_b32 v6, v28, v8 offset0:36 offset1:196
	ds_store_2addr_b32 v7, v9, v10 offset0:36 offset1:196
	;; [unrolled: 1-line block ×5, first 2 shown]
.LBB0_3:
	s_wait_alu 0xfffe
	s_or_b32 exec_lo, exec_lo, s3
	global_wb scope:SCOPE_SE
	s_wait_dscnt 0x0
	s_wait_kmcnt 0x0
	s_barrier_signal -1
	s_barrier_wait -1
	global_inv scope:SCOPE_SE
	ds_load_2addr_b32 v[18:19], v54 offset1:160
	ds_load_2addr_b32 v[16:17], v2 offset0:64 offset1:224
	ds_load_2addr_b32 v[14:15], v3 offset1:160
	ds_load_2addr_b32 v[12:13], v4 offset0:64 offset1:224
	ds_load_2addr_b32 v[10:11], v5 offset1:160
                                        ; implicit-def: $vgpr1
                                        ; implicit-def: $vgpr3
                                        ; implicit-def: $vgpr5
                                        ; implicit-def: $vgpr9
                                        ; implicit-def: $vgpr7
	s_and_saveexec_b32 s2, vcc_lo
	s_cbranch_execz .LBB0_5
; %bb.4:
	v_add_nc_u32_e32 v0, 0x100, v54
	v_add_nc_u32_e32 v1, 0x600, v54
	;; [unrolled: 1-line block ×5, first 2 shown]
	ds_load_2addr_b32 v[6:7], v0 offset0:36 offset1:196
	ds_load_2addr_b32 v[8:9], v1 offset0:36 offset1:196
	;; [unrolled: 1-line block ×5, first 2 shown]
.LBB0_5:
	s_wait_alu 0xfffe
	s_or_b32 exec_lo, exec_lo, s2
	s_wait_dscnt 0x1
	v_add_f16_e32 v20, v14, v12
	v_lshrrev_b32_e32 v21, 16, v16
	s_wait_dscnt 0x0
	v_lshrrev_b32_e32 v22, 16, v10
	v_lshrrev_b32_e32 v23, 16, v14
	;; [unrolled: 1-line block ×3, first 2 shown]
	v_fma_f16 v20, -0.5, v20, v18
	v_sub_f16_e32 v26, v10, v12
	v_sub_f16_e32 v25, v21, v22
	v_sub_f16_e32 v27, v16, v14
	v_sub_f16_e32 v28, v23, v24
	v_add_f16_e32 v30, v16, v10
	v_pk_add_f16 v39, v18, v16
	v_fmamk_f16 v29, v25, 0x3b9c, v20
	v_fmac_f16_e32 v20, 0xbb9c, v25
	v_add_f16_e32 v26, v27, v26
	v_fma_f16 v27, -0.5, v30, v18
	v_add_f16_e32 v30, v23, v24
	v_fmac_f16_e32 v29, 0x38b4, v28
	v_lshrrev_b32_e32 v18, 16, v18
	v_fmac_f16_e32 v20, 0xb8b4, v28
	v_sub_f16_e32 v35, v12, v10
	v_sub_f16_e32 v36, v14, v16
	v_fmac_f16_e32 v29, 0x34f2, v26
	v_fma_f16 v30, -0.5, v30, v18
	v_sub_f16_e32 v16, v16, v10
	v_fmac_f16_e32 v20, 0x34f2, v26
	v_add_f16_e32 v26, v36, v35
	v_add_f16_e32 v35, v21, v22
	v_fmamk_f16 v34, v28, 0xbb9c, v27
	v_fmac_f16_e32 v27, 0x3b9c, v28
	v_fmamk_f16 v28, v16, 0xbb9c, v30
	v_sub_f16_e32 v36, v14, v12
	v_sub_f16_e32 v37, v21, v23
	;; [unrolled: 1-line block ×3, first 2 shown]
	v_fmac_f16_e32 v30, 0x3b9c, v16
	v_fmac_f16_e32 v18, -0.5, v35
	v_fmac_f16_e32 v34, 0x38b4, v25
	v_fmac_f16_e32 v27, 0xb8b4, v25
	;; [unrolled: 1-line block ×3, first 2 shown]
	v_add_f16_e32 v25, v37, v38
	v_fmac_f16_e32 v30, 0x38b4, v36
	v_fmamk_f16 v35, v36, 0x3b9c, v18
	v_sub_f16_e32 v21, v23, v21
	v_sub_f16_e32 v22, v24, v22
	v_fmac_f16_e32 v18, 0xbb9c, v36
	v_fmac_f16_e32 v28, 0x34f2, v25
	;; [unrolled: 1-line block ×4, first 2 shown]
	v_add_f16_e32 v25, v15, v13
	v_add_f16_e32 v21, v21, v22
	v_fmac_f16_e32 v18, 0x38b4, v16
	v_fmac_f16_e32 v34, 0x34f2, v26
	;; [unrolled: 1-line block ×3, first 2 shown]
	v_lshrrev_b32_e32 v26, 16, v17
	v_lshrrev_b32_e32 v37, 16, v11
	v_fma_f16 v23, -0.5, v25, v19
	v_lshrrev_b32_e32 v25, 16, v15
	v_lshrrev_b32_e32 v36, 16, v13
	v_add_f16_e32 v16, v17, v11
	v_fmac_f16_e32 v35, 0x34f2, v21
	v_fmac_f16_e32 v18, 0x34f2, v21
	v_sub_f16_e32 v21, v11, v13
	v_sub_f16_e32 v41, v17, v15
	;; [unrolled: 1-line block ×6, first 2 shown]
	v_fma_f16 v16, -0.5, v16, v19
	v_pk_add_f16 v40, v19, v17
	v_add_f16_e32 v45, v25, v36
	v_lshrrev_b32_e32 v19, 16, v19
	v_add_f16_e32 v21, v41, v21
	v_add_f16_e32 v41, v44, v43
	;; [unrolled: 1-line block ×3, first 2 shown]
	v_fmamk_f16 v22, v24, 0x3b9c, v23
	v_fmamk_f16 v42, v38, 0xbb9c, v16
	v_fmac_f16_e32 v23, 0xbb9c, v24
	v_fma_f16 v43, -0.5, v45, v19
	v_sub_f16_e32 v17, v17, v11
	v_sub_f16_e32 v46, v15, v13
	v_fmac_f16_e32 v19, -0.5, v44
	v_fmac_f16_e32 v16, 0x3b9c, v38
	v_fmac_f16_e32 v22, 0x38b4, v38
	;; [unrolled: 1-line block ×3, first 2 shown]
	v_fmamk_f16 v45, v17, 0xbb9c, v43
	v_sub_f16_e32 v38, v26, v25
	v_sub_f16_e32 v44, v37, v36
	v_fmamk_f16 v47, v46, 0x3b9c, v19
	v_sub_f16_e32 v25, v25, v26
	v_sub_f16_e32 v26, v36, v37
	v_fmac_f16_e32 v16, 0xb8b4, v24
	v_fmac_f16_e32 v19, 0xbb9c, v46
	;; [unrolled: 1-line block ×4, first 2 shown]
	v_add_f16_e32 v36, v38, v44
	v_add_f16_e32 v24, v25, v26
	v_fmac_f16_e32 v19, 0x38b4, v17
	v_fmac_f16_e32 v16, 0x34f2, v41
	;; [unrolled: 1-line block ×7, first 2 shown]
	v_mul_f16_e32 v25, 0x34f2, v16
	v_fmac_f16_e32 v43, 0x34f2, v36
	v_fmac_f16_e32 v45, 0x34f2, v36
	v_mul_f16_e32 v17, 0x3a79, v22
	v_fmac_f16_e32 v47, 0x34f2, v24
	v_fmac_f16_e32 v23, 0x34f2, v21
	v_fma_f16 v21, v19, 0x3b9c, -v25
	v_mul_f16_e32 v19, 0x34f2, v19
	v_mul_f16_e32 v36, 0x3a79, v43
	v_fmac_f16_e32 v42, 0x34f2, v41
	v_fmac_f16_e32 v17, 0x38b4, v45
	v_mul_f16_e32 v24, 0x3b9c, v47
	v_mul_f16_e32 v25, 0x3a79, v23
	;; [unrolled: 1-line block ×3, first 2 shown]
	v_fma_f16 v19, v16, 0xbb9c, -v19
	v_fma_f16 v23, v23, 0xb8b4, -v36
	v_add_f16_e32 v16, v2, v4
	v_lshrrev_b32_e32 v36, 16, v0
	v_lshrrev_b32_e32 v37, 16, v8
	v_add_f16_e32 v41, v29, v17
	v_fmac_f16_e32 v24, 0x34f2, v42
	v_fma_f16 v25, v43, 0x38b4, -v25
	v_fmac_f16_e32 v22, 0x3a79, v45
	v_sub_f16_e32 v49, v29, v17
	v_fma_f16 v16, -0.5, v16, v6
	v_sub_f16_e32 v29, v37, v36
	v_lshrrev_b32_e32 v38, 16, v2
	v_lshrrev_b32_e32 v50, 16, v4
	v_mul_f16_e32 v26, 0xbb9c, v42
	v_add_f16_e32 v42, v34, v24
	v_add_f16_e32 v44, v27, v21
	;; [unrolled: 1-line block ×4, first 2 shown]
	v_sub_f16_e32 v51, v34, v24
	v_sub_f16_e32 v52, v27, v21
	;; [unrolled: 1-line block ×3, first 2 shown]
	v_fmamk_f16 v17, v29, 0x3b9c, v16
	v_sub_f16_e32 v20, v50, v38
	v_sub_f16_e32 v21, v8, v4
	v_sub_f16_e32 v24, v0, v2
	v_sub_f16_e32 v80, v28, v22
	v_add_f16_e32 v22, v0, v8
	v_fmac_f16_e32 v16, 0xbb9c, v29
	v_fmac_f16_e32 v26, 0x34f2, v47
	v_add_f16_e32 v47, v18, v19
	v_fmac_f16_e32 v17, 0x38b4, v20
	v_add_f16_e32 v24, v24, v21
	v_sub_f16_e32 v82, v18, v19
	v_fma_f16 v18, -0.5, v22, v6
	v_fmac_f16_e32 v16, 0xb8b4, v20
	v_add_f16_e32 v22, v38, v50
	v_lshrrev_b32_e32 v21, 16, v6
	v_add_f16_e32 v46, v35, v26
	v_add_f16_e32 v48, v30, v23
	v_sub_f16_e32 v81, v35, v26
	v_sub_f16_e32 v83, v30, v23
	v_fmac_f16_e32 v17, 0x34f2, v24
	v_fmamk_f16 v19, v20, 0xbb9c, v18
	v_sub_f16_e32 v23, v4, v8
	v_sub_f16_e32 v25, v2, v0
	v_fmac_f16_e32 v18, 0x3b9c, v20
	v_fma_f16 v22, -0.5, v22, v21
	v_sub_f16_e32 v26, v8, v0
	v_fmac_f16_e32 v16, 0x34f2, v24
	v_add_f16_e32 v24, v36, v37
	v_fmac_f16_e32 v19, 0x38b4, v29
	v_add_f16_e32 v23, v25, v23
	v_fmac_f16_e32 v18, 0xb8b4, v29
	v_fmamk_f16 v20, v26, 0xbb9c, v22
	v_sub_f16_e32 v25, v4, v2
	v_sub_f16_e32 v27, v37, v50
	;; [unrolled: 1-line block ×3, first 2 shown]
	v_fmac_f16_e32 v21, -0.5, v24
	v_fmac_f16_e32 v22, 0x3b9c, v26
	v_fmac_f16_e32 v19, 0x34f2, v23
	;; [unrolled: 1-line block ×4, first 2 shown]
	v_add_f16_e32 v24, v28, v27
	v_fmamk_f16 v23, v25, 0x3b9c, v21
	v_fmac_f16_e32 v22, 0x38b4, v25
	v_sub_f16_e32 v37, v50, v37
	v_fmac_f16_e32 v21, 0xbb9c, v25
	v_sub_f16_e32 v50, v9, v5
	v_sub_f16_e32 v84, v1, v3
	v_add_f16_e32 v27, v3, v5
	v_lshrrev_b32_e32 v28, 16, v1
	v_lshrrev_b32_e32 v29, 16, v9
	v_fmac_f16_e32 v20, 0x34f2, v24
	v_fmac_f16_e32 v23, 0xb8b4, v26
	v_lshrrev_b32_e32 v30, 16, v3
	v_lshrrev_b32_e32 v35, 16, v5
	v_sub_f16_e32 v36, v38, v36
	v_add_f16_e32 v85, v1, v9
	v_fmac_f16_e32 v21, 0x38b4, v26
	v_add_f16_e32 v26, v84, v50
	v_fmac_f16_e32 v22, 0x34f2, v24
	v_sub_f16_e32 v24, v5, v9
	v_sub_f16_e32 v50, v3, v1
	v_fma_f16 v34, -0.5, v27, v7
	v_sub_f16_e32 v27, v29, v28
	v_sub_f16_e32 v25, v35, v30
	v_add_f16_e32 v36, v36, v37
	v_fma_f16 v37, -0.5, v85, v7
	v_add_f16_e32 v84, v30, v35
	v_lshrrev_b32_e32 v85, 16, v7
	v_add_f16_e32 v24, v50, v24
	v_add_f16_e32 v50, v28, v29
	v_fmamk_f16 v38, v27, 0x3b9c, v34
	v_fmac_f16_e32 v23, 0x34f2, v36
	v_fmac_f16_e32 v21, 0x34f2, v36
	v_fmamk_f16 v36, v25, 0xbb9c, v37
	v_fmac_f16_e32 v34, 0xbb9c, v27
	v_fma_f16 v84, -0.5, v84, v85
	v_sub_f16_e32 v86, v9, v1
	v_sub_f16_e32 v87, v5, v3
	v_fmac_f16_e32 v85, -0.5, v50
	v_fmac_f16_e32 v37, 0x3b9c, v25
	v_fmac_f16_e32 v38, 0x38b4, v25
	;; [unrolled: 1-line block ×3, first 2 shown]
	v_fmamk_f16 v50, v86, 0xbb9c, v84
	v_sub_f16_e32 v25, v29, v35
	v_sub_f16_e32 v88, v28, v30
	v_fmamk_f16 v89, v87, 0x3b9c, v85
	v_sub_f16_e32 v29, v35, v29
	v_sub_f16_e32 v28, v30, v28
	v_fmac_f16_e32 v85, 0xbb9c, v87
	v_fmac_f16_e32 v37, 0xb8b4, v27
	;; [unrolled: 1-line block ×5, first 2 shown]
	v_add_f16_e32 v30, v88, v25
	v_fmac_f16_e32 v89, 0xb8b4, v86
	v_add_f16_e32 v25, v28, v29
	v_fmac_f16_e32 v85, 0x38b4, v86
	v_fmac_f16_e32 v37, 0x34f2, v24
	;; [unrolled: 1-line block ×3, first 2 shown]
	s_load_b64 s[0:1], s[0:1], 0x8
	v_fmac_f16_e32 v38, 0x34f2, v26
	v_fmac_f16_e32 v36, 0x34f2, v24
	;; [unrolled: 1-line block ×5, first 2 shown]
	v_mul_f16_e32 v27, 0x34f2, v37
	v_fmac_f16_e32 v34, 0x34f2, v26
	v_fmac_f16_e32 v84, 0x34f2, v30
	v_pk_add_f16 v14, v39, v14
	v_pk_add_f16 v15, v40, v15
	v_mul_f16_e32 v24, 0x38b4, v50
	v_mul_f16_e32 v25, 0x3b9c, v89
	v_fma_f16 v26, v85, 0x3b9c, -v27
	v_mul_f16_e32 v29, 0x3a79, v34
	v_mul_f16_e32 v27, 0xb8b4, v38
	;; [unrolled: 1-line block ×5, first 2 shown]
	v_mul_lo_u16 v39, v70, 10
	v_pk_add_f16 v12, v14, v12
	v_pk_add_f16 v13, v15, v13
	v_add_co_u32 v79, null, 0x64, v70
	v_fmac_f16_e32 v24, 0x3a79, v38
	v_fmac_f16_e32 v25, 0x34f2, v36
	v_fma_f16 v29, v84, 0x38b4, -v29
	v_fmac_f16_e32 v27, 0x3a79, v50
	v_fmac_f16_e32 v28, 0x34f2, v89
	v_fma_f16 v30, v37, 0xbb9c, -v30
	v_fma_f16 v38, v34, 0xb8b4, -v35
	v_and_b32_e32 v14, 0xffff, v39
	v_pk_add_f16 v15, v12, v10
	v_pk_add_f16 v39, v13, v11
	v_sub_f16_e32 v36, v17, v24
	v_sub_f16_e32 v37, v19, v25
	;; [unrolled: 1-line block ×8, first 2 shown]
	v_lshl_add_u32 v91, v14, 2, v78
	v_pk_add_f16 v10, v15, v39
	v_pack_b32_f16 v11, v41, v45
	v_pack_b32_f16 v13, v44, v47
	;; [unrolled: 1-line block ×3, first 2 shown]
	v_mul_u32_u24_e32 v87, 10, v79
	v_pk_add_f16 v15, v15, v39 neg_lo:[0,1] neg_hi:[0,1]
	v_pack_b32_f16 v39, v49, v80
	v_pack_b32_f16 v40, v51, v81
	;; [unrolled: 1-line block ×5, first 2 shown]
	global_wb scope:SCOPE_SE
	s_wait_kmcnt 0x0
	s_barrier_signal -1
	s_barrier_wait -1
	global_inv scope:SCOPE_SE
	ds_store_2addr_b64 v91, v[10:11], v[12:13] offset1:1
	ds_store_2addr_b64 v91, v[14:15], v[39:40] offset0:2 offset1:3
	ds_store_b64 v91, v[41:42] offset:32
	s_and_saveexec_b32 s2, vcc_lo
	s_cbranch_execz .LBB0_7
; %bb.6:
	v_pk_add_f16 v6, v8, v6
	v_pk_add_f16 v7, v9, v7
	v_add_f16_e32 v9, v21, v30
	v_add_f16_e32 v11, v17, v24
	;; [unrolled: 1-line block ×3, first 2 shown]
	v_pk_add_f16 v4, v4, v6
	v_pk_add_f16 v5, v5, v7
	v_add_f16_e32 v6, v23, v28
	v_add_f16_e32 v7, v20, v27
	;; [unrolled: 1-line block ×3, first 2 shown]
	v_pk_add_f16 v2, v2, v4
	v_pk_add_f16 v3, v3, v5
	v_add_f16_e32 v4, v18, v26
	v_add_f16_e32 v5, v19, v25
	v_lshl_add_u32 v14, v87, 2, v78
	v_pk_add_f16 v12, v0, v2
	v_pk_add_f16 v13, v1, v3
	v_pack_b32_f16 v1, v4, v9
	v_pack_b32_f16 v0, v5, v6
	;; [unrolled: 1-line block ×3, first 2 shown]
	v_perm_b32 v7, v122, v37, 0x5040100
	v_pk_add_f16 v2, v13, v12
	v_pk_add_f16 v5, v12, v13 neg_lo:[0,1] neg_hi:[0,1]
	v_perm_b32 v6, v121, v36, 0x5040100
	v_pack_b32_f16 v4, v10, v8
	v_perm_b32 v9, v124, v35, 0x5040100
	v_perm_b32 v8, v123, v34, 0x5040100
	ds_store_2addr_b64 v14, v[2:3], v[0:1] offset1:1
	ds_store_2addr_b64 v14, v[4:5], v[6:7] offset0:2 offset1:3
	ds_store_b64 v14, v[8:9] offset:32
.LBB0_7:
	s_wait_alu 0xfffe
	s_or_b32 exec_lo, exec_lo, s2
	v_and_b32_e32 v0, 0xff, v70
	global_wb scope:SCOPE_SE
	s_wait_dscnt 0x0
	s_barrier_signal -1
	s_barrier_wait -1
	global_inv scope:SCOPE_SE
	v_mul_lo_u16 v0, 0xcd, v0
	v_add_nc_u32_e32 v2, 0x200, v54
	v_add_nc_u32_e32 v117, 0x400, v54
	;; [unrolled: 1-line block ×4, first 2 shown]
	v_lshrrev_b16 v38, 11, v0
	v_add_nc_u32_e32 v118, 0xe00, v54
	v_add_nc_u32_e32 v24, 0x1200, v54
	;; [unrolled: 1-line block ×4, first 2 shown]
	v_mul_lo_u16 v0, v38, 10
	v_and_b32_e32 v38, 0xffff, v38
	s_delay_alu instid0(VALU_DEP_2) | instskip(NEXT) | instid1(VALU_DEP_2)
	v_sub_nc_u16 v0, v70, v0
	v_mul_u32_u24_e32 v38, 0xa0, v38
	s_delay_alu instid0(VALU_DEP_2) | instskip(NEXT) | instid1(VALU_DEP_1)
	v_and_b32_e32 v39, 0xff, v0
	v_mad_co_u64_u32 v[0:1], null, v39, 60, s[0:1]
	s_delay_alu instid0(VALU_DEP_3)
	v_or_b32_e32 v38, v38, v39
	s_clause 0x3
	global_load_b128 v[16:19], v[0:1], off
	global_load_b128 v[12:15], v[0:1], off offset:16
	global_load_b128 v[8:11], v[0:1], off offset:32
	global_load_b96 v[28:30], v[0:1], off offset:48
	ds_load_2addr_b32 v[0:1], v54 offset1:100
	ds_load_2addr_b32 v[2:3], v2 offset0:72 offset1:172
	ds_load_2addr_b32 v[4:5], v117 offset0:144 offset1:244
	;; [unrolled: 1-line block ×7, first 2 shown]
	v_lshl_add_u32 v85, v38, 2, v78
	global_wb scope:SCOPE_SE
	s_wait_loadcnt_dscnt 0x0
	s_barrier_signal -1
	s_barrier_wait -1
	global_inv scope:SCOPE_SE
	v_lshrrev_b32_e32 v41, 16, v1
	v_lshrrev_b32_e32 v42, 16, v2
	;; [unrolled: 1-line block ×31, first 2 shown]
	v_mul_f16_e32 v38, v41, v116
	v_mul_f16_e32 v81, v1, v116
	;; [unrolled: 1-line block ×22, first 2 shown]
	v_mul_f16_e64 v128, v39, v97
	v_mul_f16_e64 v129, v24, v97
	;; [unrolled: 1-line block ×8, first 2 shown]
	v_fma_f16 v2, v2, v17, -v82
	v_fma_f16 v3, v3, v18, -v84
	;; [unrolled: 1-line block ×4, first 2 shown]
	v_fmac_f16_e32 v81, v41, v16
	v_fmac_f16_e32 v83, v42, v17
	;; [unrolled: 1-line block ×4, first 2 shown]
	v_fma_f16 v1, v1, v16, -v38
	v_fmac_f16_e32 v92, v45, v12
	v_fma_f16 v6, v6, v13, -v94
	v_fmac_f16_e32 v99, v46, v13
	;; [unrolled: 2-line block ×7, first 2 shown]
	v_fma_f16 v24, v24, v11, -v128
	v_fmac_f16_e64 v129, v39, v11
	v_fma_f16 v25, v25, v28, -v130
	v_fmac_f16_e64 v131, v52, v28
	;; [unrolled: 2-line block ×4, first 2 shown]
	v_sub_f16_e32 v20, v0, v20
	v_sub_f16_e32 v38, v40, v109
	v_sub_f16_e32 v24, v4, v24
	v_sub_f16_e64 v39, v89, v129
	v_sub_f16_e32 v22, v2, v22
	v_sub_f16_e32 v41, v83, v125
	v_sub_f16_e32 v26, v6, v26
	v_sub_f16_e64 v42, v99, v133
	;; [unrolled: 4-line block ×4, first 2 shown]
	v_fma_f16 v4, v4, 2.0, -v24
	v_fma_f16 v47, v89, 2.0, -v39
	;; [unrolled: 1-line block ×9, first 2 shown]
	v_sub_f16_e32 v39, v20, v39
	v_add_f16_e32 v24, v38, v24
	v_sub_f16_e32 v42, v22, v42
	v_add_f16_e32 v26, v41, v26
	;; [unrolled: 2-line block ×4, first 2 shown]
	v_fma_f16 v0, v0, 2.0, -v20
	v_fma_f16 v40, v40, 2.0, -v38
	;; [unrolled: 1-line block ×13, first 2 shown]
	v_sub_f16_e32 v43, v52, v53
	v_fma_f16 v23, v23, 2.0, -v46
	v_fma_f16 v45, v45, 2.0, -v27
	v_fmamk_f16 v53, v42, 0x39a8, v39
	v_sub_f16_e32 v4, v0, v4
	v_sub_f16_e32 v47, v40, v47
	;; [unrolled: 1-line block ×7, first 2 shown]
	v_fmamk_f16 v81, v26, 0x39a8, v24
	v_fmamk_f16 v82, v46, 0x39a8, v44
	;; [unrolled: 1-line block ×5, first 2 shown]
	v_fmac_f16_e32 v53, 0xb9a8, v26
	v_fmamk_f16 v26, v23, 0xb9a8, v21
	v_fmamk_f16 v88, v45, 0xb9a8, v80
	v_fma_f16 v40, v40, 2.0, -v47
	v_fma_f16 v2, v2, 2.0, -v6
	;; [unrolled: 1-line block ×4, first 2 shown]
	v_sub_f16_e32 v49, v4, v49
	v_add_f16_e32 v6, v47, v6
	v_fmac_f16_e32 v81, 0x39a8, v42
	v_sub_f16_e32 v89, v5, v43
	v_add_f16_e32 v7, v51, v7
	v_fmac_f16_e32 v82, 0xb9a8, v27
	v_fmac_f16_e32 v83, 0x39a8, v46
	v_fma_f16 v0, v0, 2.0, -v4
	v_fma_f16 v1, v1, 2.0, -v5
	;; [unrolled: 1-line block ×4, first 2 shown]
	v_fmac_f16_e32 v84, 0xb9a8, v41
	v_fmac_f16_e32 v86, 0x39a8, v22
	;; [unrolled: 1-line block ×4, first 2 shown]
	v_sub_f16_e32 v27, v40, v48
	v_fma_f16 v4, v4, 2.0, -v49
	v_fma_f16 v22, v47, 2.0, -v6
	;; [unrolled: 1-line block ×8, first 2 shown]
	v_sub_f16_e32 v2, v0, v2
	v_sub_f16_e32 v3, v1, v3
	;; [unrolled: 1-line block ×3, first 2 shown]
	v_fmamk_f16 v42, v89, 0x39a8, v49
	v_fma_f16 v128, 0x39a8, v7, v6
	v_fmamk_f16 v43, v82, 0x3b64, v53
	v_fma_f16 v129, 0x3b64, v83, v81
	v_fma_f16 v20, v20, 2.0, -v84
	v_fma_f16 v38, v38, 2.0, -v86
	v_fma_f16 v21, v21, 2.0, -v26
	v_fma_f16 v51, v80, 2.0, -v88
	v_fma_f16 v48, v40, 2.0, -v27
	v_fmamk_f16 v40, v5, 0xb9a8, v4
	v_fmamk_f16 v125, v23, 0xb9a8, v22
	;; [unrolled: 1-line block ×3, first 2 shown]
	v_fma_f16 v130, 0xb61f, v25, v24
	v_fmamk_f16 v45, v26, 0x361f, v84
	v_fma_f16 v132, 0x361f, v88, v86
	v_sub_f16_e32 v44, v2, v46
	v_add_f16_e64 v131, v27, v3
	v_fmac_f16_e32 v42, 0xb9a8, v7
	v_fmac_f16_e64 v128, 0x39a8, v89
	v_fmac_f16_e32 v43, 0xb61f, v83
	v_fmac_f16_e64 v129, 0x361f, v82
	v_fma_f16 v0, v0, 2.0, -v2
	v_fma_f16 v1, v1, 2.0, -v3
	;; [unrolled: 1-line block ×3, first 2 shown]
	v_fmamk_f16 v7, v21, 0xbb64, v20
	v_fmamk_f16 v46, v51, 0xbb64, v38
	v_fmac_f16_e32 v40, 0xb9a8, v23
	v_fmac_f16_e32 v125, 0x39a8, v5
	;; [unrolled: 1-line block ×3, first 2 shown]
	v_fmac_f16_e64 v130, 0x3b64, v47
	v_fmac_f16_e32 v45, 0xbb64, v88
	v_fmac_f16_e64 v132, 0x3b64, v26
	v_fma_f16 v2, v2, 2.0, -v44
	v_fma_f16 v5, v27, 2.0, -v131
	;; [unrolled: 1-line block ×6, first 2 shown]
	v_sub_f16_e32 v1, v0, v1
	v_sub_f16_e32 v3, v48, v50
	v_fmac_f16_e32 v7, 0xb61f, v51
	v_fmac_f16_e32 v46, 0x361f, v21
	v_fma_f16 v4, v4, 2.0, -v40
	v_fma_f16 v21, v22, 2.0, -v125
	;; [unrolled: 1-line block ×6, first 2 shown]
	v_pack_b32_f16 v2, v2, v5
	v_pack_b32_f16 v5, v23, v6
	;; [unrolled: 1-line block ×3, first 2 shown]
	v_fma_f16 v0, v0, 2.0, -v1
	v_fma_f16 v48, v48, 2.0, -v3
	v_pack_b32_f16 v1, v1, v3
	v_pack_b32_f16 v3, v40, v125
	v_pack_b32_f16 v23, v41, v130
	v_fma_f16 v20, v20, 2.0, -v7
	v_fma_f16 v26, v38, 2.0, -v46
	v_pack_b32_f16 v27, v44, v131
	v_pack_b32_f16 v47, v42, v128
	;; [unrolled: 1-line block ×7, first 2 shown]
	ds_store_2addr_b32 v85, v5, v6 offset0:60 offset1:70
	v_pack_b32_f16 v5, v7, v46
	v_pack_b32_f16 v0, v0, v48
	ds_store_2addr_b32 v85, v3, v23 offset0:100 offset1:110
	v_pack_b32_f16 v3, v20, v26
	ds_store_2addr_b32 v85, v47, v49 offset0:140 offset1:150
	ds_store_2addr_b32 v85, v27, v25 offset0:120 offset1:130
	;; [unrolled: 1-line block ×5, first 2 shown]
	ds_store_2addr_b32 v85, v0, v3 offset1:10
	global_wb scope:SCOPE_SE
	s_wait_dscnt 0x0
	s_barrier_signal -1
	s_barrier_wait -1
	global_inv scope:SCOPE_SE
	ds_load_2addr_b32 v[38:39], v54 offset1:160
	ds_load_2addr_b32 v[52:53], v117 offset0:64 offset1:224
	ds_load_2addr_b32 v[50:51], v120 offset1:160
	ds_load_2addr_b32 v[48:49], v118 offset0:64 offset1:224
	ds_load_2addr_b32 v[46:47], v119 offset1:160
	s_and_saveexec_b32 s2, vcc_lo
	s_cbranch_execz .LBB0_9
; %bb.8:
	v_add_nc_u32_e32 v0, 0x100, v54
	v_add_nc_u32_e32 v1, 0x600, v54
	v_add_nc_u32_e32 v2, 0xb00, v54
	ds_load_2addr_b32 v[40:41], v0 offset0:36 offset1:196
	v_add_nc_u32_e32 v0, 0x1000, v54
	ds_load_2addr_b32 v[44:45], v1 offset0:36 offset1:196
	v_add_nc_u32_e32 v1, 0x1500, v54
	ds_load_2addr_b32 v[42:43], v2 offset0:36 offset1:196
	ds_load_2addr_b32 v[36:37], v0 offset0:36 offset1:196
	;; [unrolled: 1-line block ×3, first 2 shown]
	s_wait_dscnt 0x4
	v_lshrrev_b32_e32 v125, 16, v40
	v_lshrrev_b32_e32 v130, 16, v41
	s_wait_dscnt 0x3
	v_lshrrev_b32_e32 v131, 16, v44
	v_lshrrev_b32_e32 v132, 16, v45
	;; [unrolled: 3-line block ×5, first 2 shown]
.LBB0_9:
	s_wait_alu 0xfffe
	s_or_b32 exec_lo, exec_lo, s2
	v_mad_co_u64_u32 v[0:1], null, v70, 36, s[0:1]
	s_wait_dscnt 0x3
	v_lshrrev_b32_e32 v81, 16, v52
	v_lshrrev_b32_e32 v82, 16, v53
	s_wait_dscnt 0x2
	v_lshrrev_b32_e32 v83, 16, v50
	v_lshrrev_b32_e32 v84, 16, v51
	;; [unrolled: 3-line block ×3, first 2 shown]
	s_clause 0x2
	global_load_b128 v[24:27], v[0:1], off offset:600
	global_load_b128 v[20:23], v[0:1], off offset:616
	global_load_b32 v92, v[0:1], off offset:632
	v_subrev_nc_u32_e32 v0, 60, v70
	s_wait_dscnt 0x0
	v_lshrrev_b32_e32 v89, 16, v46
	v_lshrrev_b32_e32 v90, 16, v47
	v_lshrrev_b32_e32 v126, 16, v38
	v_cndmask_b32_e32 v0, v0, v79, vcc_lo
	s_delay_alu instid0(VALU_DEP_1) | instskip(SKIP_1) | instid1(VALU_DEP_2)
	v_mul_i32_i24_e32 v1, 36, v0
	v_mul_hi_i32_i24_e32 v0, 36, v0
	v_add_co_u32 v79, s0, s0, v1
	s_wait_alu 0xf1ff
	s_delay_alu instid0(VALU_DEP_2)
	v_add_co_ci_u32_e64 v80, s0, s1, v0, s0
	s_clause 0x2
	global_load_b128 v[0:3], v[79:80], off offset:600
	global_load_b128 v[4:7], v[79:80], off offset:616
	global_load_b32 v79, v[79:80], off offset:632
	v_lshrrev_b32_e32 v80, 16, v39
	s_wait_loadcnt 0x5
	v_lshrrev_b32_e32 v115, 16, v24
	v_lshrrev_b32_e32 v113, 16, v25
	;; [unrolled: 1-line block ×4, first 2 shown]
	s_wait_loadcnt 0x4
	v_lshrrev_b32_e32 v107, 16, v20
	v_lshrrev_b32_e32 v105, 16, v21
	;; [unrolled: 1-line block ×4, first 2 shown]
	s_wait_loadcnt 0x3
	v_lshrrev_b32_e32 v94, 16, v92
	v_mul_f16_e64 v133, v80, v115
	v_mul_f16_e32 v127, v39, v115
	v_mul_f16_e64 v134, v81, v113
	v_mul_f16_e64 v135, v52, v113
	;; [unrolled: 1-line block ×16, first 2 shown]
	v_fma_f16 v39, v39, v24, -v133
	v_fmac_f16_e32 v127, v80, v24
	v_fma_f16 v52, v52, v25, -v134
	v_fmac_f16_e64 v135, v81, v25
	v_fma_f16 v53, v53, v26, -v136
	v_fmac_f16_e64 v137, v82, v26
	v_fma_f16 v50, v50, v27, -v138
	v_fmac_f16_e64 v139, v83, v27
	v_fma_f16 v51, v51, v20, -v140
	v_fmac_f16_e64 v141, v84, v20
	v_fma_f16 v48, v48, v21, -v142
	v_fmac_f16_e64 v143, v86, v21
	v_fma_f16 v49, v49, v22, -v144
	v_fmac_f16_e64 v145, v88, v22
	v_fma_f16 v46, v46, v23, -v146
	v_fmac_f16_e64 v147, v89, v23
	v_fma_f16 v47, v47, v92, -v148
	v_fmac_f16_e64 v149, v90, v92
	s_wait_loadcnt 0x2
	v_lshrrev_b32_e32 v81, 16, v0
	v_lshrrev_b32_e32 v89, 16, v1
	;; [unrolled: 1-line block ×4, first 2 shown]
	s_wait_loadcnt 0x1
	v_lshrrev_b32_e32 v84, 16, v4
	v_lshrrev_b32_e32 v86, 16, v5
	;; [unrolled: 1-line block ×4, first 2 shown]
	s_wait_loadcnt 0x0
	v_lshrrev_b32_e32 v82, 16, v79
	v_add_f16_e64 v133, v38, v52
	v_add_f16_e64 v134, v50, v48
	v_sub_f16_e64 v140, v52, v50
	v_sub_f16_e64 v142, v46, v48
	v_add_f16_e64 v144, v52, v46
	v_sub_f16_e64 v146, v50, v52
	v_sub_f16_e64 v148, v48, v46
	v_add_f16_e64 v150, v126, v135
	v_add_f16_e64 v151, v139, v143
	;; [unrolled: 1-line block ×9, first 2 shown]
	v_mul_f16_e64 v173, v130, v81
	v_mul_f16_e64 v174, v41, v81
	;; [unrolled: 1-line block ×15, first 2 shown]
	v_sub_f16_e64 v136, v135, v147
	v_sub_f16_e64 v138, v139, v143
	v_sub_f16_e32 v52, v52, v46
	v_sub_f16_e64 v152, v50, v48
	v_sub_f16_e64 v153, v135, v139
	;; [unrolled: 1-line block ×9, first 2 shown]
	v_sub_f16_e32 v53, v53, v47
	v_sub_f16_e64 v168, v51, v49
	v_sub_f16_e64 v169, v137, v141
	;; [unrolled: 1-line block ×4, first 2 shown]
	v_mul_f16_e64 v175, v131, v89
	v_mul_f16_e64 v184, v36, v86
	v_add_f16_e64 v50, v133, v50
	v_fma_f16 v133, -0.5, v134, v38
	v_add_f16_e64 v134, v140, v142
	v_fmac_f16_e64 v38, -0.5, v144
	v_add_f16_e64 v140, v146, v148
	v_add_f16_e64 v139, v150, v139
	v_fma_f16 v142, -0.5, v151, v126
	v_fmac_f16_e64 v126, -0.5, v155
	v_add_f16_e64 v51, v157, v51
	v_fma_f16 v146, -0.5, v158, v39
	v_fmac_f16_e64 v39, -0.5, v163
	;; [unrolled: 3-line block ×3, first 2 shown]
	v_fma_f16 v41, v41, v0, -v173
	v_fmac_f16_e64 v174, v130, v0
	v_fmac_f16_e64 v176, v131, v1
	v_fma_f16 v45, v45, v2, -v177
	v_fmac_f16_e64 v178, v132, v2
	v_fma_f16 v42, v42, v3, -v179
	v_fmac_f16_e64 v180, v128, v3
	v_fma_f16 v43, v43, v4, -v181
	v_fmac_f16_e64 v182, v129, v4
	v_fma_f16 v36, v36, v5, -v183
	v_fma_f16 v37, v37, v6, -v185
	v_fmac_f16_e64 v186, v122, v6
	v_fmac_f16_e64 v188, v123, v7
	v_fma_f16 v35, v35, v79, -v189
	v_fmac_f16_e64 v190, v124, v79
	v_sub_f16_e64 v162, v47, v49
	v_sub_f16_e64 v172, v145, v149
	v_mul_f16_e64 v187, v123, v90
	v_add_f16_e64 v144, v153, v154
	v_add_f16_e64 v150, v164, v165
	;; [unrolled: 1-line block ×3, first 2 shown]
	v_fma_f16 v44, v44, v1, -v175
	v_fmac_f16_e64 v184, v121, v5
	v_fma_f16 v121, 0xbb9c, v138, v38
	v_fmac_f16_e64 v38, 0x3b9c, v138
	v_add_f16_e64 v122, v139, v143
	v_fma_f16 v123, 0xbb9c, v52, v142
	v_fmac_f16_e64 v142, 0x3b9c, v52
	v_fma_f16 v124, 0x3b9c, v152, v126
	v_fmac_f16_e64 v126, 0xbb9c, v152
	v_add_f16_e32 v49, v51, v49
	v_fma_f16 v51, 0x3b9c, v159, v146
	v_fmac_f16_e64 v146, 0xbb9c, v159
	v_fma_f16 v128, 0xbb9c, v160, v39
	v_fmac_f16_e64 v39, 0x3b9c, v160
	v_add_f16_e64 v129, v141, v145
	v_fma_f16 v130, 0xbb9c, v53, v151
	v_fmac_f16_e64 v151, 0x3b9c, v53
	v_fma_f16 v131, 0x3b9c, v168, v127
	v_fmac_f16_e64 v127, 0xbb9c, v168
	v_add_f16_e64 v139, v42, v36
	v_sub_f16_e64 v141, v176, v188
	v_add_f16_e64 v158, v125, v176
	v_sub_f16_e64 v163, v176, v180
	;; [unrolled: 2-line block ×3, first 2 shown]
	v_add_f16_e64 v169, v41, v45
	v_add_f16_e64 v170, v43, v37
	;; [unrolled: 1-line block ×6, first 2 shown]
	v_sub_f16_e64 v156, v143, v147
	v_add_f16_e64 v148, v161, v162
	v_add_f16_e64 v137, v137, v172
	v_fma_f16 v34, v34, v7, -v187
	v_add_f16_e32 v48, v50, v48
	v_fma_f16 v50, 0x3b9c, v136, v133
	v_fmac_f16_e64 v133, 0xbb9c, v136
	v_add_f16_e64 v132, v40, v44
	v_add_f16_e64 v161, v180, v184
	v_sub_f16_e64 v171, v178, v190
	v_sub_f16_e64 v172, v182, v186
	;; [unrolled: 1-line block ×4, first 2 shown]
	v_sub_f16_e32 v45, v45, v35
	v_sub_f16_e64 v185, v43, v37
	v_fmac_f16_e64 v121, 0x38b4, v136
	v_fmac_f16_e64 v38, 0xb8b4, v136
	v_fmac_f16_e64 v123, 0xb8b4, v152
	v_fmac_f16_e64 v142, 0x38b4, v152
	v_fmac_f16_e32 v124, 0xb8b4, v52
	v_fmac_f16_e32 v126, 0x38b4, v52
	v_add_f16_e32 v47, v49, v47
	v_fmac_f16_e64 v51, 0x38b4, v160
	v_fmac_f16_e64 v146, 0xb8b4, v160
	;; [unrolled: 1-line block ×4, first 2 shown]
	v_add_f16_e64 v49, v129, v149
	v_fmac_f16_e64 v130, 0xb8b4, v168
	v_fmac_f16_e64 v151, 0x38b4, v168
	;; [unrolled: 1-line block ×3, first 2 shown]
	v_fmac_f16_e32 v127, 0x38b4, v53
	v_fma_f16 v52, -0.5, v139, v40
	v_add_f16_e64 v43, v169, v43
	v_fma_f16 v139, -0.5, v170, v41
	v_fmac_f16_e64 v41, -0.5, v176
	v_add_f16_e64 v149, v181, v182
	v_fma_f16 v152, -0.5, v183, v174
	v_fmac_f16_e64 v174, -0.5, v191
	v_add_f16_e64 v135, v135, v156
	v_sub_f16_e64 v145, v44, v42
	v_sub_f16_e64 v154, v34, v36
	v_add_f16_e64 v155, v44, v34
	v_sub_f16_e64 v156, v42, v44
	v_sub_f16_e64 v157, v36, v34
	v_sub_f16_e32 v44, v44, v34
	v_sub_f16_e64 v162, v42, v36
	v_sub_f16_e64 v175, v35, v37
	;; [unrolled: 1-line block ×7, first 2 shown]
	v_add_f16_e32 v46, v48, v46
	v_fmac_f16_e64 v50, 0x38b4, v138
	v_fmac_f16_e64 v133, 0xb8b4, v138
	v_add_f16_e64 v48, v122, v147
	v_add_f16_e64 v42, v132, v42
	;; [unrolled: 1-line block ×3, first 2 shown]
	v_fma_f16 v132, -0.5, v161, v125
	v_fmac_f16_e64 v125, -0.5, v165
	v_fmac_f16_e64 v121, 0x34f2, v140
	v_fmac_f16_e64 v38, 0x34f2, v140
	;; [unrolled: 1-line block ×12, first 2 shown]
	v_add_f16_e32 v37, v43, v37
	v_fma_f16 v43, 0x3b9c, v171, v139
	v_fmac_f16_e64 v139, 0xbb9c, v171
	v_fma_f16 v140, 0xbb9c, v172, v41
	v_fmac_f16_e64 v41, 0x3b9c, v172
	v_add_f16_e64 v144, v149, v186
	v_fma_f16 v148, 0xbb9c, v45, v152
	v_fmac_f16_e64 v152, 0x3b9c, v45
	v_fma_f16 v149, 0x3b9c, v185, v174
	v_fmac_f16_e64 v174, 0xbb9c, v185
	v_sub_f16_e64 v143, v180, v184
	v_sub_f16_e64 v164, v188, v184
	;; [unrolled: 1-line block ×3, first 2 shown]
	v_add_f16_e64 v53, v145, v154
	v_fmac_f16_e64 v40, -0.5, v155
	v_add_f16_e64 v122, v156, v157
	v_add_f16_e64 v145, v173, v175
	;; [unrolled: 1-line block ×5, first 2 shown]
	v_fmac_f16_e64 v50, 0x34f2, v134
	v_fmac_f16_e64 v133, 0x34f2, v134
	;; [unrolled: 1-line block ×4, first 2 shown]
	v_add_f16_e64 v134, v46, v47
	v_add_f16_e64 v135, v48, v49
	v_sub_f16_e32 v46, v46, v47
	v_sub_f16_e32 v47, v48, v49
	v_add_f16_e32 v36, v42, v36
	v_fma_f16 v42, 0x3b9c, v141, v52
	v_fmac_f16_e64 v52, 0xbb9c, v141
	v_add_f16_e64 v49, v129, v184
	v_fma_f16 v129, 0xbb9c, v44, v132
	v_fmac_f16_e64 v132, 0x3b9c, v44
	v_fma_f16 v137, 0x3b9c, v162, v125
	v_fmac_f16_e64 v125, 0xbb9c, v162
	v_mul_f16_e64 v150, 0x38b4, v130
	v_mul_f16_e64 v153, 0x3b9c, v131
	;; [unrolled: 1-line block ×8, first 2 shown]
	v_fmac_f16_e64 v43, 0x38b4, v172
	v_fmac_f16_e64 v139, 0xb8b4, v172
	;; [unrolled: 1-line block ×8, first 2 shown]
	v_add_f16_e64 v136, v163, v164
	v_add_f16_e64 v138, v166, v167
	v_fma_f16 v48, 0xbb9c, v143, v40
	v_fmac_f16_e64 v40, 0x3b9c, v143
	v_add_f16_e64 v163, v36, v34
	v_fmac_f16_e64 v42, 0x38b4, v143
	v_fmac_f16_e64 v52, 0xb8b4, v143
	;; [unrolled: 1-line block ×5, first 2 shown]
	v_fmac_f16_e32 v125, 0x38b4, v44
	v_add_f16_e32 v44, v37, v35
	v_fmac_f16_e64 v150, 0x3a79, v51
	v_fmac_f16_e64 v153, 0x34f2, v128
	v_fma_f16 v35, v127, 0x3b9c, -v156
	v_fma_f16 v36, v151, 0x38b4, -v157
	v_fmac_f16_e64 v158, 0x3a79, v130
	v_fmac_f16_e64 v159, 0x34f2, v131
	v_fma_f16 v37, v39, 0xbb9c, -v160
	v_fma_f16 v39, v146, 0xb8b4, -v161
	v_fmac_f16_e64 v43, 0x34f2, v145
	v_fmac_f16_e64 v139, 0x34f2, v145
	;; [unrolled: 1-line block ×10, first 2 shown]
	v_fmac_f16_e32 v42, 0x34f2, v53
	v_fmac_f16_e32 v52, 0x34f2, v53
	v_fmac_f16_e64 v129, 0x34f2, v136
	v_fmac_f16_e64 v132, 0x34f2, v136
	;; [unrolled: 1-line block ×4, first 2 shown]
	v_add_f16_e64 v51, v50, v150
	v_add_f16_e64 v53, v121, v153
	;; [unrolled: 1-line block ×7, first 2 shown]
	v_sub_f16_e64 v50, v50, v150
	v_sub_f16_e64 v146, v121, v153
	v_sub_f16_e64 v147, v38, v35
	v_sub_f16_e64 v133, v133, v36
	v_sub_f16_e64 v150, v123, v158
	v_sub_f16_e64 v151, v124, v159
	v_sub_f16_e64 v142, v142, v39
	v_mul_f16_e64 v45, 0x38b4, v148
	v_mul_f16_e64 v123, 0x3b9c, v149
	v_mul_f16_e32 v35, 0x34f2, v41
	v_mul_f16_e64 v36, 0x3a79, v139
	v_mul_f16_e32 v124, 0xb8b4, v43
	v_mul_f16_e64 v154, 0xbb9c, v140
	v_mul_f16_e64 v39, 0x34f2, v174
	;; [unrolled: 1-line block ×3, first 2 shown]
	v_add_f16_e64 v49, v49, v188
	v_add_f16_e64 v141, v144, v190
	v_fmac_f16_e32 v48, 0x34f2, v122
	v_fmac_f16_e32 v40, 0x34f2, v122
	v_add_f16_e64 v144, v126, v37
	v_sub_f16_e64 v153, v126, v37
	v_fmac_f16_e32 v45, 0x3a79, v43
	v_fmac_f16_e64 v123, 0x34f2, v140
	v_fma_f16 v43, v174, 0x3b9c, -v35
	v_fma_f16 v126, v152, 0x38b4, -v36
	v_fmac_f16_e64 v124, 0x3a79, v148
	v_fmac_f16_e64 v154, 0x34f2, v149
	v_fma_f16 v41, v41, 0xbb9c, -v39
	v_fma_f16 v139, v139, 0xb8b4, -v121
	v_add_f16_e64 v34, v163, v44
	v_add_f16_e32 v35, v42, v45
	v_add_f16_e32 v36, v48, v123
	;; [unrolled: 1-line block ×4, first 2 shown]
	v_add_f16_e64 v127, v49, v141
	v_add_f16_e64 v122, v129, v124
	;; [unrolled: 1-line block ×5, first 2 shown]
	v_sub_f16_e64 v39, v163, v44
	v_sub_f16_e32 v44, v42, v45
	v_sub_f16_e32 v45, v48, v123
	;; [unrolled: 1-line block ×4, first 2 shown]
	v_sub_f16_e64 v126, v49, v141
	v_sub_f16_e64 v123, v129, v124
	v_sub_f16_e64 v124, v137, v154
	v_sub_f16_e32 v125, v125, v41
	v_sub_f16_e64 v129, v132, v139
	v_pack_b32_f16 v40, v134, v135
	v_pack_b32_f16 v41, v51, v138
	;; [unrolled: 1-line block ×10, first 2 shown]
	ds_store_2addr_b32 v54, v40, v41 offset1:160
	ds_store_2addr_b32 v117, v48, v49 offset0:64 offset1:224
	ds_store_2addr_b32 v120, v51, v46 offset1:160
	ds_store_2addr_b32 v118, v47, v50 offset0:64 offset1:224
	ds_store_2addr_b32 v119, v52, v53 offset1:160
	s_and_saveexec_b32 s0, vcc_lo
	s_cbranch_execz .LBB0_11
; %bb.10:
	v_perm_b32 v40, v127, v34, 0x5040100
	v_perm_b32 v41, v122, v35, 0x5040100
	v_add_nc_u32_e32 v46, 0x100, v54
	v_perm_b32 v47, v130, v36, 0x5040100
	v_perm_b32 v48, v128, v37, 0x5040100
	v_add_nc_u32_e32 v49, 0x600, v54
	;; [unrolled: 3-line block ×5, first 2 shown]
	ds_store_2addr_b32 v46, v40, v41 offset0:36 offset1:196
	ds_store_2addr_b32 v49, v47, v48 offset0:36 offset1:196
	;; [unrolled: 1-line block ×5, first 2 shown]
.LBB0_11:
	s_wait_alu 0xfffe
	s_or_b32 exec_lo, exec_lo, s0
	global_wb scope:SCOPE_SE
	s_wait_dscnt 0x0
	s_barrier_signal -1
	s_barrier_wait -1
	global_inv scope:SCOPE_SE
	global_load_b32 v47, v[31:32], off offset:6400
	v_lshlrev_b32_e32 v46, 2, v70
	s_add_nc_u64 s[0:1], s[12:13], 0x1900
	s_clause 0x8
	global_load_b32 v133, v46, s[0:1] offset:640
	global_load_b32 v134, v46, s[0:1] offset:1280
	global_load_b32 v135, v46, s[0:1] offset:1920
	global_load_b32 v136, v46, s[0:1] offset:2560
	global_load_b32 v137, v46, s[0:1] offset:3200
	global_load_b32 v138, v46, s[0:1] offset:3840
	global_load_b32 v139, v46, s[0:1] offset:4480
	global_load_b32 v140, v46, s[0:1] offset:5120
	global_load_b32 v141, v46, s[0:1] offset:5760
	ds_load_2addr_b32 v[50:51], v54 offset1:160
	v_add_nc_u32_e32 v40, 0x400, v54
	v_add_nc_u32_e32 v41, 0xa00, v54
	;; [unrolled: 1-line block ×4, first 2 shown]
	ds_load_2addr_b32 v[52:53], v40 offset0:64 offset1:224
	ds_load_2addr_b32 v[117:118], v41 offset1:160
	ds_load_2addr_b32 v[119:120], v48 offset0:64 offset1:224
	ds_load_2addr_b32 v[131:132], v49 offset1:160
	s_wait_dscnt 0x4
	v_lshrrev_b32_e32 v142, 16, v50
	v_lshrrev_b32_e32 v143, 16, v51
	s_wait_dscnt 0x2
	v_lshrrev_b32_e32 v146, 16, v117
	v_lshrrev_b32_e32 v144, 16, v52
	;; [unrolled: 1-line block ×4, first 2 shown]
	s_wait_dscnt 0x1
	v_lshrrev_b32_e32 v149, 16, v119
	v_lshrrev_b32_e32 v150, 16, v120
	s_wait_dscnt 0x0
	v_lshrrev_b32_e32 v151, 16, v131
	v_lshrrev_b32_e32 v152, 16, v132
	s_wait_loadcnt 0x8
	v_lshrrev_b32_e32 v154, 16, v133
	s_wait_loadcnt 0x7
	v_lshrrev_b32_e32 v155, 16, v134
	v_lshrrev_b32_e32 v148, 16, v47
	s_wait_loadcnt 0x6
	v_lshrrev_b32_e32 v156, 16, v135
	s_wait_loadcnt 0x5
	v_lshrrev_b32_e32 v157, 16, v136
	s_wait_loadcnt 0x4
	v_lshrrev_b32_e32 v158, 16, v137
	s_wait_loadcnt 0x3
	v_lshrrev_b32_e32 v159, 16, v138
	v_mul_f16_e64 v153, v142, v148
	v_mul_f16_e64 v148, v50, v148
	s_wait_loadcnt 0x2
	v_lshrrev_b32_e32 v160, 16, v139
	s_wait_loadcnt 0x1
	v_lshrrev_b32_e32 v161, 16, v140
	;; [unrolled: 2-line block ×3, first 2 shown]
	v_fma_f16 v50, v50, v47, -v153
	v_fmac_f16_e64 v148, v142, v47
	v_mul_f16_e64 v47, v143, v154
	v_mul_f16_e64 v142, v51, v154
	;; [unrolled: 1-line block ×18, first 2 shown]
	v_fma_f16 v47, v51, v133, -v47
	v_fmac_f16_e64 v142, v143, v133
	v_fma_f16 v51, v52, v134, -v153
	v_fmac_f16_e64 v154, v144, v134
	;; [unrolled: 2-line block ×9, first 2 shown]
	v_pack_b32_f16 v50, v50, v148
	v_pack_b32_f16 v47, v47, v142
	v_pack_b32_f16 v51, v51, v154
	v_pack_b32_f16 v52, v52, v156
	v_pack_b32_f16 v53, v53, v157
	v_pack_b32_f16 v117, v117, v158
	v_pack_b32_f16 v118, v118, v159
	v_pack_b32_f16 v119, v119, v160
	v_pack_b32_f16 v120, v120, v161
	v_pack_b32_f16 v131, v131, v162
	ds_store_2addr_b32 v54, v50, v47 offset1:160
	ds_store_2addr_b32 v40, v51, v52 offset0:64 offset1:224
	ds_store_2addr_b32 v41, v53, v117 offset1:160
	ds_store_2addr_b32 v48, v118, v119 offset0:64 offset1:224
	ds_store_2addr_b32 v49, v120, v131 offset1:160
	s_and_saveexec_b32 s2, vcc_lo
	s_cbranch_execz .LBB0_13
; %bb.12:
	s_wait_alu 0xfffe
	v_add_co_u32 v46, s0, s0, v46
	s_wait_alu 0xf1ff
	v_add_co_ci_u32_e64 v47, null, s1, 0, s0
	v_add_nc_u32_e32 v141, 0x100, v54
	v_add_nc_u32_e32 v142, 0x600, v54
	;; [unrolled: 1-line block ×3, first 2 shown]
	s_clause 0x9
	global_load_b32 v131, v[46:47], off offset:400
	global_load_b32 v132, v[46:47], off offset:1040
	;; [unrolled: 1-line block ×10, first 2 shown]
	v_add_nc_u32_e32 v144, 0x1000, v54
	ds_load_2addr_b32 v[46:47], v141 offset0:36 offset1:196
	ds_load_2addr_b32 v[50:51], v142 offset0:36 offset1:196
	v_add_nc_u32_e32 v145, 0x1500, v54
	ds_load_2addr_b32 v[52:53], v143 offset0:36 offset1:196
	ds_load_2addr_b32 v[117:118], v144 offset0:36 offset1:196
	;; [unrolled: 1-line block ×3, first 2 shown]
	s_wait_dscnt 0x4
	v_lshrrev_b32_e32 v146, 16, v46
	v_lshrrev_b32_e32 v147, 16, v47
	s_wait_dscnt 0x3
	v_lshrrev_b32_e32 v148, 16, v50
	v_lshrrev_b32_e32 v149, 16, v51
	;; [unrolled: 3-line block ×5, first 2 shown]
	s_wait_loadcnt 0x9
	v_lshrrev_b32_e32 v156, 16, v131
	s_wait_loadcnt 0x8
	v_lshrrev_b32_e32 v157, 16, v132
	;; [unrolled: 2-line block ×10, first 2 shown]
	v_mul_f16_e64 v166, v146, v156
	v_mul_f16_e64 v156, v46, v156
	;; [unrolled: 1-line block ×20, first 2 shown]
	v_fma_f16 v46, v46, v131, -v166
	v_fmac_f16_e64 v156, v146, v131
	v_fma_f16 v47, v47, v132, -v167
	v_fmac_f16_e64 v157, v147, v132
	;; [unrolled: 2-line block ×10, first 2 shown]
	v_pack_b32_f16 v46, v46, v156
	v_pack_b32_f16 v47, v47, v157
	;; [unrolled: 1-line block ×10, first 2 shown]
	ds_store_2addr_b32 v141, v46, v47 offset0:36 offset1:196
	ds_store_2addr_b32 v142, v50, v51 offset0:36 offset1:196
	;; [unrolled: 1-line block ×5, first 2 shown]
.LBB0_13:
	s_wait_alu 0xfffe
	s_or_b32 exec_lo, exec_lo, s2
	global_wb scope:SCOPE_SE
	s_wait_dscnt 0x0
	s_barrier_signal -1
	s_barrier_wait -1
	global_inv scope:SCOPE_SE
	ds_load_2addr_b32 v[46:47], v54 offset1:160
	ds_load_2addr_b32 v[52:53], v40 offset0:64 offset1:224
	ds_load_2addr_b32 v[40:41], v41 offset1:160
	ds_load_2addr_b32 v[50:51], v48 offset0:64 offset1:224
	ds_load_2addr_b32 v[48:49], v49 offset1:160
	s_and_saveexec_b32 s0, vcc_lo
	s_cbranch_execz .LBB0_15
; %bb.14:
	v_add_nc_u32_e32 v34, 0x100, v54
	v_add_nc_u32_e32 v36, 0x600, v54
	;; [unrolled: 1-line block ×5, first 2 shown]
	ds_load_2addr_b32 v[34:35], v34 offset0:36 offset1:196
	ds_load_2addr_b32 v[36:37], v36 offset0:36 offset1:196
	;; [unrolled: 1-line block ×5, first 2 shown]
	s_wait_dscnt 0x2
	v_lshrrev_b32_e32 v121, 16, v38
	v_lshrrev_b32_e32 v127, 16, v34
	;; [unrolled: 1-line block ×6, first 2 shown]
	s_wait_dscnt 0x1
	v_lshrrev_b32_e32 v123, 16, v44
	v_lshrrev_b32_e32 v124, 16, v45
	s_wait_dscnt 0x0
	v_lshrrev_b32_e32 v125, 16, v42
	v_lshrrev_b32_e32 v129, 16, v43
.LBB0_15:
	s_wait_alu 0xfffe
	s_or_b32 exec_lo, exec_lo, s0
	s_wait_dscnt 0x1
	v_add_f16_e32 v117, v40, v50
	v_lshrrev_b32_e32 v118, 16, v52
	s_wait_dscnt 0x0
	v_lshrrev_b32_e32 v119, 16, v48
	v_lshrrev_b32_e32 v120, 16, v40
	;; [unrolled: 1-line block ×3, first 2 shown]
	v_fma_f16 v117, -0.5, v117, v46
	v_sub_f16_e64 v133, v48, v50
	v_sub_f16_e64 v132, v118, v119
	;; [unrolled: 1-line block ×3, first 2 shown]
	v_add_f16_e64 v137, v52, v48
	v_sub_f16_e64 v135, v120, v131
	v_pk_add_f16 v141, v46, v52
	v_fma_f16 v136, 0xbb9c, v132, v117
	v_add_f16_e64 v133, v134, v133
	v_fmac_f16_e64 v117, 0x3b9c, v132
	v_fma_f16 v134, -0.5, v137, v46
	v_lshrrev_b32_e32 v46, 16, v46
	v_add_f16_e64 v137, v120, v131
	v_fmac_f16_e64 v136, 0xb8b4, v135
	v_fmac_f16_e64 v117, 0x38b4, v135
	v_fma_f16 v138, 0x3b9c, v135, v134
	v_sub_f16_e64 v139, v50, v48
	v_sub_f16_e64 v140, v40, v52
	v_fmac_f16_e64 v134, 0xbb9c, v135
	v_fma_f16 v135, -0.5, v137, v46
	v_sub_f16_e32 v52, v52, v48
	v_add_f16_e64 v137, v118, v119
	v_fmac_f16_e64 v136, 0x34f2, v133
	v_fmac_f16_e64 v117, 0x34f2, v133
	;; [unrolled: 1-line block ×3, first 2 shown]
	v_add_f16_e64 v133, v140, v139
	v_fmac_f16_e64 v134, 0x38b4, v132
	v_fma_f16 v132, 0x3b9c, v52, v135
	v_sub_f16_e64 v139, v40, v50
	v_sub_f16_e64 v140, v118, v120
	v_sub_f16_e64 v142, v119, v131
	v_fmac_f16_e64 v46, -0.5, v137
	v_fmac_f16_e64 v135, 0xbb9c, v52
	v_fmac_f16_e64 v138, 0x34f2, v133
	;; [unrolled: 1-line block ×4, first 2 shown]
	v_add_f16_e64 v133, v140, v142
	v_fma_f16 v137, 0xbb9c, v139, v46
	v_add_f16_e64 v140, v41, v51
	v_lshrrev_b32_e32 v142, 16, v53
	v_lshrrev_b32_e32 v143, 16, v49
	v_fmac_f16_e64 v135, 0xb8b4, v139
	v_lshrrev_b32_e32 v145, 16, v41
	v_lshrrev_b32_e32 v146, 16, v51
	v_sub_f16_e32 v118, v120, v118
	v_sub_f16_e64 v119, v131, v119
	v_fmac_f16_e64 v46, 0x3b9c, v139
	v_sub_f16_e64 v139, v49, v51
	v_sub_f16_e64 v147, v53, v41
	v_add_f16_e64 v148, v53, v49
	v_fmac_f16_e64 v132, 0x34f2, v133
	v_fmac_f16_e64 v137, 0x38b4, v52
	v_fma_f16 v140, -0.5, v140, v47
	v_sub_f16_e64 v144, v142, v143
	v_add_f16_e32 v118, v118, v119
	v_fmac_f16_e32 v46, 0xb8b4, v52
	v_add_f16_e64 v52, v147, v139
	v_fma_f16 v119, -0.5, v148, v47
	v_fmac_f16_e64 v135, 0x34f2, v133
	v_sub_f16_e64 v133, v51, v49
	v_sub_f16_e64 v139, v41, v53
	v_add_f16_e64 v147, v145, v146
	v_lshrrev_b32_e32 v148, 16, v47
	v_fma_f16 v120, 0xbb9c, v144, v140
	v_sub_f16_e64 v131, v145, v146
	v_fmac_f16_e64 v140, 0x3b9c, v144
	v_add_f16_e64 v133, v139, v133
	v_add_f16_e64 v139, v142, v143
	v_fma_f16 v147, -0.5, v147, v148
	v_sub_f16_e64 v149, v53, v49
	v_fmac_f16_e64 v120, 0xb8b4, v131
	v_fmac_f16_e64 v137, 0x34f2, v118
	v_fmac_f16_e32 v46, 0x34f2, v118
	v_fma_f16 v118, 0x3b9c, v131, v119
	v_fmac_f16_e64 v140, 0x38b4, v131
	v_sub_f16_e64 v150, v41, v51
	v_fmac_f16_e64 v148, -0.5, v139
	v_fmac_f16_e64 v119, 0xbb9c, v131
	v_fma_f16 v131, 0x3b9c, v149, v147
	v_sub_f16_e64 v139, v142, v145
	v_sub_f16_e64 v151, v143, v146
	v_fmac_f16_e64 v147, 0xbb9c, v149
	v_fma_f16 v152, 0xbb9c, v150, v148
	v_sub_f16_e64 v142, v145, v142
	v_sub_f16_e64 v143, v146, v143
	v_fmac_f16_e64 v148, 0x3b9c, v150
	v_fmac_f16_e64 v131, 0x38b4, v150
	v_add_f16_e64 v139, v139, v151
	v_fmac_f16_e64 v147, 0xb8b4, v150
	v_fmac_f16_e64 v118, 0xb8b4, v144
	v_fmac_f16_e64 v152, 0x38b4, v149
	v_add_f16_e64 v142, v142, v143
	v_fmac_f16_e64 v148, 0xb8b4, v149
	v_fmac_f16_e64 v119, 0x38b4, v144
	;; [unrolled: 1-line block ×4, first 2 shown]
	v_fmac_f16_e32 v120, 0x34f2, v52
	v_fmac_f16_e64 v118, 0x34f2, v133
	v_fmac_f16_e64 v152, 0x34f2, v142
	;; [unrolled: 1-line block ×4, first 2 shown]
	v_mul_f16_e64 v133, 0xb8b4, v131
	v_fmac_f16_e64 v140, 0x34f2, v52
	v_mul_f16_e64 v52, 0xb8b4, v147
	v_mul_f16_e64 v142, 0xbb9c, v152
	;; [unrolled: 1-line block ×3, first 2 shown]
	v_fmac_f16_e64 v133, 0x3a79, v120
	v_pk_add_f16 v47, v47, v53
	v_fmac_f16_e64 v52, 0xba79, v140
	v_mul_f16_e32 v120, 0x38b4, v120
	v_mul_f16_e64 v139, 0x34f2, v152
	v_mul_f16_e64 v148, 0xb4f2, v148
	v_add_f16_e32 v53, v44, v38
	v_fmac_f16_e64 v142, 0x34f2, v118
	v_fmac_f16_e64 v143, 0xb4f2, v119
	v_add_f16_e64 v149, v117, v52
	v_fmac_f16_e64 v120, 0x3a79, v131
	v_fmac_f16_e64 v139, 0x3b9c, v118
	;; [unrolled: 1-line block ×3, first 2 shown]
	v_fma_f16 v53, -0.5, v53, v34
	v_sub_f16_e64 v131, v130, v125
	v_sub_f16_e64 v157, v117, v52
	v_sub_f16_e32 v117, v36, v38
	v_sub_f16_e32 v118, v42, v44
	v_add_f16_e32 v119, v42, v36
	v_add_f16_e64 v145, v136, v133
	v_mul_f16_e64 v147, 0xba79, v147
	v_add_f16_e64 v150, v132, v120
	v_add_f16_e64 v152, v46, v148
	v_sub_f16_e64 v154, v136, v133
	v_fma_f16 v52, 0xbb9c, v131, v53
	v_sub_f16_e64 v133, v121, v123
	v_sub_f16_e64 v158, v132, v120
	v_add_f16_e32 v120, v118, v117
	v_sub_f16_e64 v160, v46, v148
	v_fmac_f16_e64 v53, 0x3b9c, v131
	v_fma_f16 v117, -0.5, v119, v34
	v_add_f16_e32 v46, v123, v121
	v_add_f16_e64 v144, v134, v143
	v_fmac_f16_e64 v147, 0x38b4, v140
	v_sub_f16_e64 v156, v134, v143
	v_fmac_f16_e64 v52, 0xb8b4, v133
	v_fmac_f16_e64 v53, 0x38b4, v133
	v_fma_f16 v118, 0x3b9c, v133, v117
	v_sub_f16_e64 v132, v38, v36
	v_sub_f16_e64 v134, v44, v42
	v_fma_f16 v119, -0.5, v46, v127
	v_sub_f16_e32 v46, v36, v42
	v_fmac_f16_e64 v117, 0xbb9c, v133
	v_add_f16_e64 v153, v135, v147
	v_sub_f16_e64 v161, v135, v147
	v_fmac_f16_e32 v52, 0x34f2, v120
	v_fmac_f16_e32 v53, 0x34f2, v120
	v_fmac_f16_e64 v118, 0xb8b4, v131
	v_add_f16_e64 v132, v134, v132
	v_fmamk_f16 v120, v46, 0x3b9c, v119
	v_sub_f16_e64 v133, v38, v44
	v_sub_f16_e64 v134, v130, v121
	;; [unrolled: 1-line block ×3, first 2 shown]
	v_fmac_f16_e32 v119, 0xbb9c, v46
	v_fmac_f16_e64 v117, 0x38b4, v131
	v_add_f16_e64 v131, v125, v130
	v_fmac_f16_e64 v120, 0x38b4, v133
	v_add_f16_e64 v134, v135, v134
	v_fmac_f16_e64 v119, 0xb8b4, v133
	v_fmac_f16_e64 v118, 0x34f2, v132
	v_fma_f16 v131, -0.5, v131, v127
	v_fmac_f16_e64 v117, 0x34f2, v132
	v_fmac_f16_e64 v120, 0x34f2, v134
	v_fmac_f16_e64 v119, 0x34f2, v134
	v_add_f16_e64 v134, v45, v39
	v_fma_f16 v132, 0xbb9c, v133, v131
	v_sub_f16_e64 v135, v121, v130
	v_sub_f16_e64 v136, v123, v125
	v_fmac_f16_e64 v131, 0x3b9c, v133
	v_add_f16_e64 v146, v138, v142
	v_add_f16_e64 v151, v137, v139
	v_sub_f16_e64 v155, v138, v142
	v_sub_f16_e64 v159, v137, v139
	v_fma_f16 v142, -0.5, v134, v35
	v_fmac_f16_e64 v132, 0x38b4, v46
	v_add_f16_e64 v134, v136, v135
	v_fmac_f16_e64 v131, 0xb8b4, v46
	v_sub_f16_e64 v136, v37, v39
	v_sub_f16_e64 v137, v43, v45
	;; [unrolled: 1-line block ×3, first 2 shown]
	v_add_f16_e32 v46, v43, v37
	v_fmac_f16_e64 v132, 0x34f2, v134
	v_fmac_f16_e64 v131, 0x34f2, v134
	v_add_f16_e64 v136, v137, v136
	v_sub_f16_e64 v134, v39, v37
	v_sub_f16_e64 v137, v45, v43
	v_add_f16_e64 v138, v124, v126
	v_fma_f16 v143, 0xbb9c, v133, v142
	v_sub_f16_e64 v135, v126, v124
	v_fma_f16 v46, -0.5, v46, v35
	v_fmac_f16_e64 v142, 0x3b9c, v133
	v_add_f16_e64 v134, v137, v134
	v_add_f16_e64 v137, v129, v128
	v_fma_f16 v140, -0.5, v138, v122
	v_sub_f16_e64 v138, v37, v43
	v_fmac_f16_e64 v143, 0xb8b4, v135
	v_fma_f16 v147, 0x3b9c, v135, v46
	v_fmac_f16_e64 v142, 0x38b4, v135
	v_sub_f16_e64 v139, v39, v45
	v_fma_f16 v148, -0.5, v137, v122
	v_fmac_f16_e64 v46, 0xbb9c, v135
	v_fma_f16 v137, 0x3b9c, v138, v140
	v_sub_f16_e64 v135, v128, v126
	v_sub_f16_e64 v162, v129, v124
	v_fmac_f16_e64 v140, 0xbb9c, v138
	v_fma_f16 v163, 0xbb9c, v139, v148
	v_sub_f16_e64 v164, v126, v128
	v_sub_f16_e64 v165, v124, v129
	v_fmac_f16_e64 v148, 0x3b9c, v139
	v_add_f16_e64 v162, v162, v135
	v_fmac_f16_e64 v140, 0xb8b4, v139
	v_fmac_f16_e64 v137, 0x38b4, v139
	;; [unrolled: 1-line block ×3, first 2 shown]
	v_add_f16_e64 v135, v165, v164
	v_fmac_f16_e64 v148, 0xb8b4, v138
	v_fmac_f16_e64 v140, 0x34f2, v162
	;; [unrolled: 1-line block ×9, first 2 shown]
	v_mul_f16_e64 v136, 0xb8b4, v140
	v_mul_f16_e64 v140, 0xba79, v140
	v_pk_add_f16 v141, v141, v40
	v_pk_add_f16 v41, v47, v41
	v_fmac_f16_e64 v147, 0x34f2, v134
	v_fmac_f16_e64 v46, 0x34f2, v134
	v_mul_f16_e64 v133, 0xb8b4, v137
	v_mul_f16_e64 v134, 0xbb9c, v163
	;; [unrolled: 1-line block ×6, first 2 shown]
	v_fmac_f16_e64 v136, 0xba79, v142
	v_fmac_f16_e64 v140, 0x38b4, v142
	v_pk_add_f16 v141, v141, v50
	v_pk_add_f16 v142, v41, v51
	v_fmac_f16_e64 v133, 0x3a79, v143
	v_fmac_f16_e64 v134, 0x34f2, v147
	;; [unrolled: 1-line block ×6, first 2 shown]
	v_pk_add_f16 v147, v141, v48
	v_pk_add_f16 v148, v142, v49
	v_sub_f16_e64 v46, v52, v133
	v_sub_f16_e64 v47, v118, v134
	;; [unrolled: 1-line block ×8, first 2 shown]
	v_pk_add_f16 v141, v147, v148
	v_pack_b32_f16 v144, v144, v152
	v_pack_b32_f16 v143, v146, v151
	;; [unrolled: 1-line block ×3, first 2 shown]
	v_pk_add_f16 v146, v147, v148 neg_lo:[0,1] neg_hi:[0,1]
	v_pack_b32_f16 v148, v155, v159
	v_pack_b32_f16 v147, v154, v158
	v_pack_b32_f16 v145, v149, v153
	v_pack_b32_f16 v150, v157, v161
	v_pack_b32_f16 v149, v156, v160
	global_wb scope:SCOPE_SE
	s_barrier_signal -1
	s_barrier_wait -1
	global_inv scope:SCOPE_SE
	ds_store_2addr_b64 v91, v[141:142], v[143:144] offset1:1
	ds_store_2addr_b64 v91, v[145:146], v[147:148] offset0:2 offset1:3
	ds_store_b64 v91, v[149:150] offset:32
	s_and_saveexec_b32 s0, vcc_lo
	s_cbranch_execz .LBB0_17
; %bb.16:
	v_add_f16_e64 v91, v130, v127
	v_add_f16_e64 v122, v128, v122
	v_add_f16_e32 v34, v36, v34
	v_add_f16_e32 v35, v37, v35
	v_add_f16_e64 v52, v52, v133
	v_add_f16_e32 v36, v121, v91
	v_add_f16_e32 v37, v126, v122
	;; [unrolled: 1-line block ×4, first 2 shown]
	v_add_f16_e64 v39, v131, v139
	v_add_f16_e32 v36, v123, v36
	v_add_f16_e32 v37, v124, v37
	;; [unrolled: 1-line block ×4, first 2 shown]
	v_add_f16_e64 v45, v120, v137
	v_add_f16_e32 v36, v125, v36
	v_add_f16_e64 v37, v129, v37
	v_add_f16_e32 v34, v42, v34
	v_add_f16_e32 v35, v43, v35
	v_add_f16_e64 v42, v132, v138
	v_add_f16_e64 v91, v118, v134
	v_sub_f16_e32 v43, v36, v37
	v_add_f16_e32 v36, v37, v36
	v_sub_f16_e32 v44, v34, v35
	v_add_f16_e32 v34, v35, v34
	v_add_f16_e64 v35, v117, v135
	v_add_f16_e64 v38, v119, v140
	;; [unrolled: 1-line block ×3, first 2 shown]
	v_lshl_add_u32 v78, v87, 2, v78
	v_pack_b32_f16 v34, v34, v36
	v_pack_b32_f16 v37, v35, v39
	;; [unrolled: 1-line block ×5, first 2 shown]
	v_perm_b32 v43, v50, v47, 0x5040100
	v_perm_b32 v42, v51, v46, 0x5040100
	v_pack_b32_f16 v38, v53, v38
	v_perm_b32 v45, v48, v41, 0x5040100
	v_perm_b32 v44, v49, v40, 0x5040100
	ds_store_2addr_b64 v78, v[34:35], v[36:37] offset1:1
	ds_store_2addr_b64 v78, v[38:39], v[42:43] offset0:2 offset1:3
	ds_store_b64 v78, v[44:45] offset:32
.LBB0_17:
	s_wait_alu 0xfffe
	s_or_b32 exec_lo, exec_lo, s0
	v_add_nc_u32_e32 v37, 0x200, v54
	global_wb scope:SCOPE_SE
	s_wait_dscnt 0x0
	s_barrier_signal -1
	s_barrier_wait -1
	global_inv scope:SCOPE_SE
	ds_load_2addr_b32 v[34:35], v54 offset1:100
	ds_load_2addr_b32 v[42:43], v37 offset0:72 offset1:172
	v_add_nc_u32_e32 v36, 0x400, v54
	v_add_nc_u32_e32 v38, 0x800, v54
	;; [unrolled: 1-line block ×5, first 2 shown]
	ds_load_2addr_b32 v[44:45], v36 offset0:144 offset1:244
	ds_load_2addr_b32 v[52:53], v38 offset0:88 offset1:188
	v_add_nc_u32_e32 v38, 0x1400, v54
	ds_load_2addr_b32 v[117:118], v39 offset0:32 offset1:132
	ds_load_2addr_b32 v[119:120], v37 offset0:104 offset1:204
	;; [unrolled: 1-line block ×4, first 2 shown]
	global_wb scope:SCOPE_SE
	s_wait_dscnt 0x0
	s_barrier_signal -1
	s_barrier_wait -1
	global_inv scope:SCOPE_SE
	v_lshrrev_b32_e32 v78, 16, v35
	v_lshrrev_b32_e32 v87, 16, v42
	;; [unrolled: 1-line block ×4, first 2 shown]
	s_delay_alu instid0(VALU_DEP_4)
	v_mul_f16_e64 v135, v116, v78
	v_mul_f16_e32 v116, v116, v35
	v_lshrrev_b32_e32 v125, 16, v44
	v_mul_f16_e64 v138, v114, v87
	v_lshrrev_b32_e32 v126, 16, v45
	v_fmac_f16_e64 v135, v16, v35
	v_mul_f16_e32 v35, v114, v42
	v_mul_f16_e32 v114, v112, v91
	v_lshrrev_b32_e32 v127, 16, v52
	v_fmac_f16_e64 v138, v17, v42
	v_mul_f16_e32 v42, v112, v43
	v_fma_f16 v17, v17, v87, -v35
	v_fmac_f16_e32 v114, v18, v43
	v_mul_f16_e32 v35, v110, v125
	v_mul_f16_e32 v43, v110, v44
	v_lshrrev_b32_e32 v128, 16, v53
	v_lshrrev_b32_e32 v129, 16, v117
	v_fma_f16 v16, v16, v78, -v116
	v_fma_f16 v18, v18, v91, -v42
	v_mul_f16_e32 v42, v108, v126
	v_mul_f16_e32 v78, v108, v45
	v_fmac_f16_e32 v35, v19, v44
	v_fma_f16 v19, v19, v125, -v43
	v_mul_f16_e32 v43, v106, v127
	v_mul_f16_e32 v44, v106, v52
	v_lshrrev_b32_e32 v130, 16, v118
	v_lshrrev_b32_e32 v131, 16, v119
	v_fmac_f16_e32 v42, v12, v45
	v_fma_f16 v12, v12, v126, -v78
	v_mul_f16_e64 v45, v104, v128
	v_fmac_f16_e32 v43, v13, v52
	v_mul_f16_e32 v52, v104, v53
	v_mul_f16_e64 v78, v103, v129
	v_fma_f16 v13, v13, v127, -v44
	v_mul_f16_e32 v44, v103, v117
	v_lshrrev_b32_e32 v132, 16, v120
	v_fmac_f16_e32 v45, v14, v53
	v_fma_f16 v14, v14, v128, -v52
	v_fmac_f16_e32 v78, v15, v117
	v_mul_f16_e64 v52, v101, v130
	v_mul_f16_e32 v53, v101, v118
	v_fma_f16 v15, v15, v129, -v44
	v_mul_f16_e64 v44, v100, v131
	v_mul_f16_e32 v87, v100, v119
	v_lshrrev_b32_e32 v133, 16, v121
	v_lshrrev_b32_e32 v134, 16, v122
	;; [unrolled: 1-line block ×3, first 2 shown]
	v_fmac_f16_e32 v52, v8, v118
	v_fma_f16 v8, v8, v130, -v53
	v_mul_f16_e64 v53, v98, v132
	v_fmac_f16_e32 v44, v9, v119
	v_fma_f16 v9, v9, v131, -v87
	v_mul_f16_e32 v87, v98, v120
	v_mul_f16_e64 v91, v97, v133
	v_fmac_f16_e32 v53, v10, v120
	v_mul_f16_e32 v97, v97, v121
	v_mul_f16_e64 v98, v96, v134
	v_fma_f16 v10, v10, v132, -v87
	v_mul_f16_e32 v87, v96, v122
	v_mul_f16_e64 v96, v95, v136
	v_mul_f16_e32 v95, v95, v123
	v_lshrrev_b32_e32 v137, 16, v124
	v_fmac_f16_e32 v91, v11, v121
	v_fma_f16 v11, v11, v133, -v97
	v_fmac_f16_e32 v96, v29, v123
	v_fma_f16 v29, v29, v136, -v95
	;; [unrolled: 2-line block ×3, first 2 shown]
	v_mul_f16_e64 v87, v93, v137
	v_mul_f16_e32 v93, v93, v124
	v_sub_f16_e32 v78, v34, v78
	v_sub_f16_e32 v15, v39, v15
	v_sub_f16_e32 v91, v35, v91
	v_sub_f16_e32 v11, v19, v11
	v_sub_f16_e64 v44, v138, v44
	v_sub_f16_e32 v9, v17, v9
	v_sub_f16_e32 v95, v43, v96
	;; [unrolled: 1-line block ×3, first 2 shown]
	v_fmac_f16_e32 v87, v30, v124
	v_fma_f16 v30, v30, v137, -v93
	v_fma_f16 v34, v34, 2.0, -v78
	v_fma_f16 v39, v39, 2.0, -v15
	;; [unrolled: 1-line block ×8, first 2 shown]
	v_add_f16_e32 v11, v78, v11
	v_add_f16_e32 v29, v44, v29
	v_sub_f16_e64 v52, v135, v52
	v_sub_f16_e32 v28, v12, v28
	v_sub_f16_e32 v53, v114, v53
	;; [unrolled: 1-line block ×6, first 2 shown]
	v_fma_f16 v78, v78, 2.0, -v11
	v_sub_f16_e32 v13, v17, v13
	v_sub_f16_e32 v95, v9, v95
	v_fma_f16 v44, v44, 2.0, -v29
	v_sub_f16_e32 v10, v18, v10
	v_sub_f16_e32 v87, v45, v87
	v_fma_f16 v12, v12, 2.0, -v28
	v_fma_f16 v14, v14, 2.0, -v30
	v_sub_f16_e32 v91, v15, v91
	v_fma_f16 v34, v34, 2.0, -v35
	v_fma_f16 v39, v39, 2.0, -v19
	;; [unrolled: 1-line block ×5, first 2 shown]
	v_add_f16_e32 v28, v52, v28
	v_add_f16_e32 v30, v53, v30
	v_fmamk_f16 v100, v44, 0xb9a8, v78
	v_sub_f16_e32 v8, v16, v8
	v_sub_f16_e32 v96, v42, v98
	v_fma_f16 v97, v135, 2.0, -v52
	v_fma_f16 v98, v114, 2.0, -v53
	;; [unrolled: 1-line block ×5, first 2 shown]
	v_sub_f16_e32 v87, v10, v87
	v_fma_f16 v53, v53, 2.0, -v30
	v_sub_f16_e32 v93, v34, v93
	v_sub_f16_e32 v17, v39, v17
	v_fmac_f16_e32 v100, 0x39a8, v9
	v_fmamk_f16 v106, v95, 0x39a8, v91
	v_fma_f16 v42, v42, 2.0, -v96
	v_fma_f16 v18, v18, 2.0, -v10
	v_sub_f16_e32 v96, v8, v96
	v_fmamk_f16 v101, v9, 0xb9a8, v15
	v_fma_f16 v9, v10, 2.0, -v87
	v_fma_f16 v10, v34, 2.0, -v93
	;; [unrolled: 1-line block ×4, first 2 shown]
	v_fmamk_f16 v78, v29, 0x39a8, v11
	v_fmac_f16_e32 v106, 0xb9a8, v29
	v_fmamk_f16 v29, v53, 0xb9a8, v52
	v_fma_f16 v16, v16, 2.0, -v8
	v_sub_f16_e32 v42, v97, v42
	v_sub_f16_e32 v45, v98, v45
	v_fma_f16 v8, v8, 2.0, -v96
	v_fmac_f16_e32 v29, 0x39a8, v9
	v_fmac_f16_e32 v101, 0xb9a8, v44
	v_fma_f16 v97, v97, 2.0, -v42
	v_fma_f16 v98, v98, 2.0, -v45
	v_add_f16_e32 v103, v35, v13
	v_sub_f16_e32 v104, v19, v43
	v_fmamk_f16 v43, v9, 0xb9a8, v8
	v_fma_f16 v44, v52, 2.0, -v29
	v_fmamk_f16 v52, v30, 0x39a8, v28
	v_fma_f16 v13, v15, 2.0, -v101
	v_fmac_f16_e32 v78, 0x39a8, v95
	v_fma_f16 v15, v35, 2.0, -v103
	v_sub_f16_e32 v35, v97, v98
	v_fmac_f16_e32 v43, 0xb9a8, v53
	v_fmamk_f16 v95, v87, 0x39a8, v96
	v_fmac_f16_e32 v52, 0x39a8, v87
	v_sub_f16_e32 v12, v16, v12
	v_sub_f16_e32 v14, v18, v14
	v_fma_f16 v11, v11, 2.0, -v78
	v_fma_f16 v9, v97, 2.0, -v35
	;; [unrolled: 1-line block ×3, first 2 shown]
	v_fmac_f16_e32 v95, 0xb9a8, v30
	v_fma_f16 v28, v28, 2.0, -v52
	v_fmamk_f16 v97, v44, 0xbb64, v39
	v_sub_f16_e32 v53, v12, v45
	v_fma_f16 v16, v16, 2.0, -v12
	v_fma_f16 v18, v18, 2.0, -v14
	;; [unrolled: 1-line block ×3, first 2 shown]
	v_add_f16_e32 v14, v42, v14
	v_sub_f16_e32 v87, v10, v9
	v_fma_f16 v45, v96, 2.0, -v95
	v_fmac_f16_e32 v97, 0x361f, v8
	v_fmamk_f16 v9, v28, 0xb61f, v11
	v_fma_f16 v19, v19, 2.0, -v104
	v_fma_f16 v12, v12, 2.0, -v53
	v_sub_f16_e32 v18, v16, v18
	v_fma_f16 v42, v42, 2.0, -v14
	v_fmamk_f16 v98, v8, 0xbb64, v13
	v_fma_f16 v108, v39, 2.0, -v97
	v_fmamk_f16 v39, v45, 0xb61f, v91
	v_fmac_f16_e32 v9, 0x3b64, v45
	v_fmamk_f16 v30, v12, 0xb9a8, v19
	v_fma_f16 v16, v16, 2.0, -v18
	v_fmamk_f16 v8, v42, 0xb9a8, v15
	v_fmac_f16_e32 v98, 0xb61f, v44
	v_fmac_f16_e32 v39, 0xbb64, v28
	v_fma_f16 v28, v11, 2.0, -v9
	v_fmamk_f16 v11, v29, 0x361f, v100
	v_fmac_f16_e32 v30, 0xb9a8, v42
	v_fmamk_f16 v42, v43, 0x361f, v101
	v_sub_f16_e32 v16, v34, v16
	v_fmac_f16_e32 v8, 0x39a8, v12
	v_fma_f16 v110, v13, 2.0, -v98
	v_fmac_f16_e32 v11, 0x3b64, v43
	v_fmamk_f16 v12, v14, 0x39a8, v103
	v_fmamk_f16 v45, v53, 0x39a8, v104
	;; [unrolled: 1-line block ×4, first 2 shown]
	v_fma_f16 v96, v10, 2.0, -v87
	v_add_f16_e32 v10, v93, v18
	v_sub_f16_e32 v44, v17, v35
	v_fmac_f16_e32 v42, 0xbb64, v29
	v_fma_f16 v34, v34, 2.0, -v16
	v_fmac_f16_e32 v12, 0x39a8, v53
	v_fmac_f16_e32 v45, 0xb9a8, v14
	;; [unrolled: 1-line block ×4, first 2 shown]
	v_fma_f16 v15, v15, 2.0, -v8
	v_fma_f16 v19, v19, 2.0, -v30
	;; [unrolled: 1-line block ×11, first 2 shown]
	v_pack_b32_f16 v34, v96, v34
	v_pack_b32_f16 v93, v108, v110
	;; [unrolled: 1-line block ×6, first 2 shown]
	ds_store_2addr_b32 v85, v34, v93 offset1:10
	ds_store_2addr_b32 v85, v15, v18 offset0:20 offset1:30
	ds_store_2addr_b32 v85, v17, v14 offset0:40 offset1:50
	v_pack_b32_f16 v14, v52, v53
	v_pack_b32_f16 v15, v78, v91
	;; [unrolled: 1-line block ×6, first 2 shown]
	v_add_nc_u32_e32 v52, 0xa00, v54
	v_pack_b32_f16 v28, v10, v44
	v_pack_b32_f16 v29, v11, v42
	;; [unrolled: 1-line block ×4, first 2 shown]
	ds_store_2addr_b32 v85, v14, v15 offset0:60 offset1:70
	ds_store_2addr_b32 v85, v16, v17 offset0:80 offset1:90
	;; [unrolled: 1-line block ×5, first 2 shown]
	global_wb scope:SCOPE_SE
	s_wait_dscnt 0x0
	s_barrier_signal -1
	s_barrier_wait -1
	global_inv scope:SCOPE_SE
	ds_load_2addr_b32 v[14:15], v54 offset1:160
	ds_load_2addr_b32 v[34:35], v36 offset0:64 offset1:224
	ds_load_2addr_b32 v[28:29], v52 offset1:160
	ds_load_2addr_b32 v[18:19], v37 offset0:64 offset1:224
	ds_load_2addr_b32 v[16:17], v38 offset1:160
	s_and_saveexec_b32 s0, vcc_lo
	s_cbranch_execz .LBB0_19
; %bb.18:
	v_add_nc_u32_e32 v8, 0x100, v54
	v_add_nc_u32_e32 v10, 0x600, v54
	;; [unrolled: 1-line block ×5, first 2 shown]
	ds_load_2addr_b32 v[8:9], v8 offset0:36 offset1:196
	ds_load_2addr_b32 v[10:11], v10 offset0:36 offset1:196
	;; [unrolled: 1-line block ×5, first 2 shown]
	s_wait_dscnt 0x2
	v_lshrrev_b32_e32 v45, 16, v12
	v_lshrrev_b32_e32 v30, 16, v8
	;; [unrolled: 1-line block ×6, first 2 shown]
	s_wait_dscnt 0x1
	v_lshrrev_b32_e32 v51, 16, v46
	v_lshrrev_b32_e32 v50, 16, v47
	s_wait_dscnt 0x0
	v_lshrrev_b32_e32 v49, 16, v40
	v_lshrrev_b32_e32 v48, 16, v41
.LBB0_19:
	s_wait_alu 0xfffe
	s_or_b32 exec_lo, exec_lo, s0
	s_wait_dscnt 0x4
	v_lshrrev_b32_e32 v78, 16, v15
	s_wait_dscnt 0x3
	v_lshrrev_b32_e32 v85, 16, v34
	v_lshrrev_b32_e32 v87, 16, v35
	s_wait_dscnt 0x2
	v_lshrrev_b32_e32 v91, 16, v28
	v_lshrrev_b32_e32 v93, 16, v29
	v_mul_f16_e32 v97, v115, v78
	v_mul_f16_e32 v101, v113, v85
	;; [unrolled: 1-line block ×3, first 2 shown]
	s_wait_dscnt 0x1
	v_lshrrev_b32_e32 v95, 16, v18
	v_lshrrev_b32_e32 v96, 16, v19
	v_fmac_f16_e32 v97, v24, v15
	v_mul_f16_e32 v15, v113, v34
	v_fmac_f16_e32 v101, v25, v34
	v_mul_f16_e32 v34, v111, v87
	v_fma_f16 v24, v24, v78, -v100
	v_mul_f16_e32 v78, v111, v35
	v_fma_f16 v15, v25, v85, -v15
	v_mul_f16_e32 v25, v109, v91
	v_fmac_f16_e32 v34, v26, v35
	v_mul_f16_e32 v35, v107, v93
	s_wait_dscnt 0x0
	v_lshrrev_b32_e32 v98, 16, v16
	v_mul_f16_e32 v85, v109, v28
	v_fma_f16 v26, v26, v87, -v78
	v_fmac_f16_e32 v25, v27, v28
	v_mul_f16_e32 v28, v107, v29
	v_mul_f16_e32 v78, v105, v95
	v_fmac_f16_e32 v35, v20, v29
	v_mul_f16_e32 v29, v105, v18
	v_fma_f16 v27, v27, v91, -v85
	v_mul_f16_e32 v85, v102, v96
	v_fmac_f16_e32 v78, v21, v18
	v_mul_f16_e32 v18, v99, v16
	v_fma_f16 v21, v21, v95, -v29
	v_mul_f16_e32 v29, v99, v98
	v_lshrrev_b32_e32 v103, 16, v17
	v_fma_f16 v20, v20, v93, -v28
	v_fmac_f16_e32 v85, v22, v19
	v_mul_f16_e32 v19, v102, v19
	v_add_f16_e32 v28, v25, v78
	v_fma_f16 v18, v23, v98, -v18
	v_fmac_f16_e32 v29, v23, v16
	v_lshrrev_b32_e32 v53, 16, v14
	v_mul_f16_e32 v87, v94, v103
	v_fma_f16 v28, -0.5, v28, v14
	v_sub_f16_e32 v93, v15, v18
	v_fma_f16 v19, v22, v96, -v19
	v_add_f16_e32 v96, v101, v29
	v_add_f16_e32 v91, v14, v101
	v_fmac_f16_e32 v87, v92, v17
	v_fmamk_f16 v22, v93, 0xbb9c, v28
	v_sub_f16_e32 v23, v27, v21
	v_mul_f16_e32 v17, v94, v17
	v_fmac_f16_e32 v14, -0.5, v96
	v_fmac_f16_e32 v28, 0x3b9c, v93
	v_add_f16_e32 v96, v53, v15
	v_add_f16_e32 v16, v91, v25
	v_sub_f16_e32 v91, v101, v25
	v_sub_f16_e32 v95, v29, v78
	v_fmac_f16_e32 v22, 0xb8b4, v23
	v_fma_f16 v17, v92, v103, -v17
	v_fmamk_f16 v92, v23, 0x3b9c, v14
	v_fmac_f16_e32 v28, 0x38b4, v23
	v_fmac_f16_e32 v14, 0xbb9c, v23
	v_add_f16_e32 v23, v96, v27
	v_add_f16_e32 v16, v16, v78
	;; [unrolled: 1-line block ×3, first 2 shown]
	v_sub_f16_e32 v94, v25, v101
	v_sub_f16_e32 v95, v78, v29
	v_add_f16_e32 v98, v27, v21
	v_fmac_f16_e32 v92, 0xb8b4, v93
	v_fmac_f16_e32 v14, 0x38b4, v93
	v_add_f16_e32 v23, v23, v21
	v_add_f16_e32 v93, v15, v18
	;; [unrolled: 1-line block ×4, first 2 shown]
	v_fma_f16 v95, -0.5, v98, v53
	v_sub_f16_e32 v29, v101, v29
	v_sub_f16_e32 v25, v25, v78
	;; [unrolled: 1-line block ×4, first 2 shown]
	v_fmac_f16_e32 v53, -0.5, v93
	v_add_f16_e32 v23, v23, v18
	v_sub_f16_e32 v15, v27, v15
	v_sub_f16_e32 v18, v21, v18
	v_add_f16_e32 v21, v97, v34
	v_fmac_f16_e32 v22, 0x34f2, v91
	v_fmac_f16_e32 v28, 0x34f2, v91
	v_fmamk_f16 v91, v29, 0x3b9c, v95
	v_fmac_f16_e32 v95, 0xbb9c, v29
	v_fmamk_f16 v93, v25, 0xbb9c, v53
	v_add_f16_e32 v15, v15, v18
	v_fmac_f16_e32 v53, 0x3b9c, v25
	v_add_f16_e32 v18, v21, v35
	v_add_f16_e32 v21, v35, v85
	v_fmac_f16_e32 v91, 0x38b4, v25
	v_fmac_f16_e32 v95, 0xb8b4, v25
	;; [unrolled: 1-line block ×4, first 2 shown]
	v_add_f16_e32 v18, v18, v85
	v_add_f16_e32 v25, v34, v87
	;; [unrolled: 1-line block ×3, first 2 shown]
	v_fma_f16 v21, -0.5, v21, v97
	v_sub_f16_e32 v27, v26, v17
	v_fmac_f16_e32 v93, 0x34f2, v15
	v_fmac_f16_e32 v53, 0x34f2, v15
	v_add_f16_e32 v15, v18, v87
	v_sub_f16_e32 v18, v20, v19
	v_fmac_f16_e32 v97, -0.5, v25
	v_fmac_f16_e32 v91, 0x34f2, v78
	v_fmac_f16_e32 v95, 0x34f2, v78
	v_fmamk_f16 v25, v27, 0xbb9c, v21
	v_sub_f16_e32 v29, v34, v35
	v_sub_f16_e32 v78, v87, v85
	v_fmac_f16_e32 v21, 0x3b9c, v27
	v_fmac_f16_e32 v92, 0x34f2, v94
	;; [unrolled: 1-line block ×3, first 2 shown]
	v_fmamk_f16 v94, v18, 0x3b9c, v97
	v_fmac_f16_e32 v97, 0xbb9c, v18
	v_sub_f16_e32 v96, v35, v34
	v_sub_f16_e32 v98, v85, v87
	v_fmac_f16_e32 v25, 0xb8b4, v18
	v_add_f16_e32 v29, v29, v78
	v_fmac_f16_e32 v21, 0x38b4, v18
	v_add_f16_e32 v18, v20, v19
	v_fmac_f16_e32 v94, 0xb8b4, v27
	v_fmac_f16_e32 v97, 0x38b4, v27
	v_add_f16_e32 v27, v26, v17
	v_add_f16_e32 v78, v96, v98
	v_fmac_f16_e32 v25, 0x34f2, v29
	v_fmac_f16_e32 v21, 0x34f2, v29
	v_fma_f16 v18, -0.5, v18, v24
	v_sub_f16_e32 v29, v34, v87
	v_add_f16_e32 v34, v24, v26
	v_sub_f16_e32 v35, v35, v85
	v_fmac_f16_e32 v24, -0.5, v27
	v_fmac_f16_e32 v94, 0x34f2, v78
	v_fmac_f16_e32 v97, 0x34f2, v78
	v_fmamk_f16 v27, v29, 0x3b9c, v18
	v_sub_f16_e32 v78, v26, v20
	v_sub_f16_e32 v85, v17, v19
	v_fmamk_f16 v87, v35, 0xbb9c, v24
	v_sub_f16_e32 v26, v20, v26
	v_sub_f16_e32 v96, v19, v17
	v_fmac_f16_e32 v24, 0x3b9c, v35
	v_fmac_f16_e32 v18, 0xbb9c, v29
	;; [unrolled: 1-line block ×3, first 2 shown]
	v_add_f16_e32 v78, v78, v85
	v_fmac_f16_e32 v87, 0x38b4, v29
	v_add_f16_e32 v26, v26, v96
	v_fmac_f16_e32 v24, 0xb8b4, v29
	;; [unrolled: 2-line block ×3, first 2 shown]
	v_fmac_f16_e32 v27, 0x34f2, v78
	v_fmac_f16_e32 v87, 0x34f2, v26
	;; [unrolled: 1-line block ×3, first 2 shown]
	v_add_f16_e32 v19, v20, v19
	v_fmac_f16_e32 v18, 0x34f2, v78
	v_mul_f16_e32 v20, 0xb8b4, v27
	v_mul_f16_e32 v27, 0x3a79, v27
	;; [unrolled: 1-line block ×6, first 2 shown]
	v_add_f16_e32 v17, v19, v17
	v_mul_f16_e32 v19, 0xb8b4, v18
	v_mul_f16_e32 v18, 0xba79, v18
	v_fmac_f16_e32 v20, 0x3a79, v25
	v_fmac_f16_e32 v27, 0x38b4, v25
	;; [unrolled: 1-line block ×8, first 2 shown]
	v_add_f16_e32 v34, v16, v15
	v_add_f16_e32 v35, v22, v20
	;; [unrolled: 1-line block ×10, first 2 shown]
	v_sub_f16_e32 v15, v16, v15
	v_sub_f16_e32 v17, v23, v17
	;; [unrolled: 1-line block ×10, first 2 shown]
	v_pack_b32_f16 v21, v34, v21
	v_pack_b32_f16 v25, v35, v25
	;; [unrolled: 1-line block ×10, first 2 shown]
	ds_store_2addr_b32 v54, v21, v25 offset1:160
	ds_store_2addr_b32 v36, v26, v27 offset0:64 offset1:224
	ds_store_2addr_b32 v52, v28, v15 offset1:160
	ds_store_2addr_b32 v37, v16, v17 offset0:64 offset1:224
	ds_store_2addr_b32 v38, v14, v18 offset1:160
	s_and_saveexec_b32 s0, vcc_lo
	s_cbranch_execz .LBB0_21
; %bb.20:
	v_mul_f16_e32 v14, v88, v12
	v_mul_f16_e32 v15, v86, v46
	;; [unrolled: 1-line block ×5, first 2 shown]
	v_fma_f16 v14, v3, v45, -v14
	v_fma_f16 v15, v5, v51, -v15
	v_fmac_f16_e32 v18, v1, v10
	v_mul_f16_e32 v23, v80, v42
	v_mul_f16_e32 v24, v84, v43
	v_fmac_f16_e32 v21, v5, v46
	v_add_f16_e32 v20, v15, v14
	v_mul_f16_e32 v5, v83, v50
	v_fmac_f16_e32 v23, v2, v11
	v_fmac_f16_e32 v24, v4, v13
	v_mul_f16_e32 v25, v81, v39
	v_fma_f16 v10, -0.5, v20, v30
	v_mul_f16_e32 v20, v88, v45
	v_fmac_f16_e32 v5, v6, v47
	v_mul_f16_e32 v19, v90, v49
	v_fmac_f16_e32 v25, v0, v9
	;; [unrolled: 2-line block ×3, first 2 shown]
	v_mul_f16_e32 v3, v82, v48
	v_mul_f16_e32 v12, v84, v13
	;; [unrolled: 1-line block ×3, first 2 shown]
	v_fma_f16 v16, v1, v44, -v16
	v_fmac_f16_e32 v19, v7, v40
	v_fmac_f16_e32 v3, v79, v41
	v_fma_f16 v4, v4, v43, -v12
	v_mul_f16_e32 v12, v81, v9
	v_fma_f16 v6, v6, v50, -v13
	v_mul_f16_e32 v9, v80, v11
	v_mul_f16_e32 v11, v82, v41
	v_add_f16_e32 v43, v3, v23
	v_add_f16_e32 v13, v5, v24
	v_sub_f16_e32 v38, v4, v6
	v_fma_f16 v2, v2, v42, -v9
	v_fma_f16 v9, v79, v48, -v11
	v_fma_f16 v43, -0.5, v43, v25
	v_fma_f16 v0, v0, v39, -v12
	v_add_f16_e32 v12, v6, v4
	v_fma_f16 v13, -0.5, v13, v25
	v_sub_f16_e32 v27, v2, v9
	v_add_f16_e32 v42, v9, v2
	v_fmamk_f16 v50, v38, 0xbb9c, v43
	v_fmac_f16_e32 v43, 0x3b9c, v38
	v_fma_f16 v17, v7, v49, -v17
	v_sub_f16_e32 v22, v18, v19
	v_fma_f16 v12, -0.5, v12, v0
	v_sub_f16_e32 v28, v2, v4
	v_sub_f16_e32 v29, v9, v6
	v_fmamk_f16 v37, v27, 0x3b9c, v13
	v_fma_f16 v42, -0.5, v42, v0
	v_fmac_f16_e32 v50, 0x38b4, v27
	v_fmac_f16_e32 v43, 0xb8b4, v27
	;; [unrolled: 1-line block ×3, first 2 shown]
	v_add_f16_e32 v27, v16, v30
	v_add_f16_e32 v0, v2, v0
	v_sub_f16_e32 v1, v16, v14
	v_sub_f16_e32 v7, v17, v15
	;; [unrolled: 1-line block ×3, first 2 shown]
	v_add_f16_e32 v28, v29, v28
	v_fmamk_f16 v29, v22, 0xbb9c, v10
	v_sub_f16_e32 v39, v20, v21
	v_sub_f16_e32 v47, v4, v2
	v_fmac_f16_e32 v10, 0x3b9c, v22
	v_add_f16_e32 v2, v14, v27
	v_add_f16_e32 v0, v4, v0
	;; [unrolled: 1-line block ×3, first 2 shown]
	v_sub_f16_e32 v35, v24, v5
	v_fmamk_f16 v34, v26, 0xbb9c, v12
	v_add_f16_e32 v1, v7, v1
	v_fmac_f16_e32 v29, 0xb8b4, v39
	v_add_f16_e32 v40, v17, v16
	v_sub_f16_e32 v41, v14, v16
	v_sub_f16_e32 v44, v15, v17
	;; [unrolled: 1-line block ×3, first 2 shown]
	v_fmac_f16_e32 v12, 0x3b9c, v26
	v_fmac_f16_e32 v10, 0x38b4, v39
	v_add_f16_e32 v2, v15, v2
	v_add_f16_e32 v0, v6, v0
	;; [unrolled: 1-line block ×3, first 2 shown]
	v_sub_f16_e32 v14, v14, v15
	v_fma_f16 v15, -0.5, v27, v8
	v_sub_f16_e32 v45, v24, v23
	v_sub_f16_e32 v46, v5, v3
	v_fmamk_f16 v49, v35, 0x3b9c, v42
	v_fmac_f16_e32 v42, 0xbb9c, v35
	v_sub_f16_e32 v11, v23, v24
	v_sub_f16_e32 v36, v3, v5
	v_fmac_f16_e32 v34, 0xb8b4, v35
	v_fmac_f16_e32 v37, 0x38b4, v38
	;; [unrolled: 1-line block ×3, first 2 shown]
	v_fma_f16 v40, -0.5, v40, v30
	v_fmac_f16_e32 v12, 0x38b4, v35
	v_fmac_f16_e32 v13, 0xb8b4, v38
	;; [unrolled: 1-line block ×3, first 2 shown]
	v_add_f16_e32 v1, v17, v2
	v_fma_f16 v6, -0.5, v6, v8
	v_sub_f16_e32 v16, v16, v17
	v_sub_f16_e32 v17, v18, v20
	v_sub_f16_e32 v30, v20, v18
	v_fmamk_f16 v38, v14, 0xbb9c, v15
	v_fmac_f16_e32 v15, 0x3b9c, v14
	v_add_f16_e32 v8, v18, v8
	v_add_f16_e32 v18, v23, v25
	v_add_f16_e32 v45, v46, v45
	v_add_f16_e32 v46, v48, v47
	v_fmac_f16_e32 v49, 0xb8b4, v26
	v_fmac_f16_e32 v42, 0x38b4, v26
	v_add_f16_e32 v11, v36, v11
	v_fmac_f16_e32 v34, 0x34f2, v28
	v_fmac_f16_e32 v12, 0x34f2, v28
	v_sub_f16_e32 v27, v19, v21
	v_fmamk_f16 v28, v16, 0x3b9c, v6
	v_fmac_f16_e32 v38, 0x38b4, v16
	v_fmac_f16_e32 v15, 0xb8b4, v16
	;; [unrolled: 1-line block ×3, first 2 shown]
	v_add_f16_e32 v8, v20, v8
	v_add_f16_e32 v16, v24, v18
	v_fmamk_f16 v51, v39, 0x3b9c, v40
	v_fmac_f16_e32 v49, 0x34f2, v46
	v_fmac_f16_e32 v40, 0xbb9c, v39
	;; [unrolled: 1-line block ×3, first 2 shown]
	v_sub_f16_e32 v35, v21, v19
	v_fmac_f16_e32 v13, 0x34f2, v11
	v_mul_f16_e32 v4, 0x3a79, v12
	v_add_f16_e32 v17, v27, v17
	v_fmac_f16_e32 v6, 0xb8b4, v14
	v_mul_f16_e32 v12, 0xb8b4, v12
	v_add_f16_e32 v8, v21, v8
	v_add_f16_e32 v5, v5, v16
	v_mul_f16_e32 v7, 0xba79, v34
	v_add_f16_e32 v41, v44, v41
	v_fmac_f16_e32 v51, 0xb8b4, v22
	v_fmac_f16_e32 v50, 0x34f2, v45
	v_mul_f16_e32 v44, 0xb4f2, v49
	v_fmac_f16_e32 v40, 0x38b4, v22
	v_fmac_f16_e32 v43, 0x34f2, v45
	v_mul_f16_e32 v26, 0x34f2, v42
	v_mul_f16_e32 v27, 0xb8b4, v34
	v_add_f16_e32 v30, v35, v30
	v_mul_f16_e32 v34, 0xbb9c, v49
	v_mul_f16_e32 v18, 0xbb9c, v42
	v_fmac_f16_e32 v37, 0x34f2, v11
	v_fmac_f16_e32 v28, 0x38b4, v14
	;; [unrolled: 1-line block ×3, first 2 shown]
	v_add_f16_e32 v0, v9, v0
	v_fmac_f16_e32 v6, 0x34f2, v17
	v_fmac_f16_e32 v12, 0x3a79, v13
	v_add_f16_e32 v8, v19, v8
	v_add_f16_e32 v3, v3, v5
	v_fmac_f16_e32 v51, 0x34f2, v41
	v_fmac_f16_e32 v44, 0x3b9c, v50
	;; [unrolled: 1-line block ×11, first 2 shown]
	v_sub_f16_e32 v11, v10, v4
	v_sub_f16_e32 v22, v1, v0
	v_sub_f16_e32 v17, v8, v3
	v_add_f16_e32 v4, v10, v4
	v_add_f16_e32 v0, v1, v0
	;; [unrolled: 1-line block ×8, first 2 shown]
	v_sub_f16_e32 v36, v29, v7
	v_sub_f16_e32 v16, v6, v12
	v_add_f16_e32 v7, v29, v7
	v_add_f16_e32 v6, v28, v27
	v_sub_f16_e32 v9, v40, v26
	v_sub_f16_e32 v14, v15, v18
	;; [unrolled: 1-line block ×5, first 2 shown]
	v_pack_b32_f16 v0, v1, v0
	v_pack_b32_f16 v1, v3, v4
	v_add_nc_u32_e32 v3, 0x100, v54
	v_pack_b32_f16 v4, v8, v20
	v_pack_b32_f16 v8, v10, v19
	v_add_nc_u32_e32 v10, 0x600, v54
	;; [unrolled: 3-line block ×5, first 2 shown]
	ds_store_2addr_b32 v3, v0, v1 offset0:36 offset1:196
	ds_store_2addr_b32 v10, v4, v8 offset0:36 offset1:196
	;; [unrolled: 1-line block ×5, first 2 shown]
.LBB0_21:
	s_wait_alu 0xfffe
	s_or_b32 exec_lo, exec_lo, s0
	global_wb scope:SCOPE_SE
	s_wait_dscnt 0x0
	s_barrier_signal -1
	s_barrier_wait -1
	global_inv scope:SCOPE_SE
	ds_load_2addr_b32 v[0:1], v54 offset1:160
	v_add_nc_u32_e32 v4, 0x400, v54
	s_mov_b32 s8, 0x47ae147b
	s_mov_b32 s9, 0x3f447ae1
	s_wait_dscnt 0x0
	v_lshrrev_b32_e32 v2, 16, v0
	v_mul_f16_e32 v3, v77, v0
	v_lshrrev_b32_e32 v5, 16, v1
	v_mul_f16_e32 v6, v76, v1
	s_delay_alu instid0(VALU_DEP_3)
	v_fma_f16 v7, v74, v2, -v3
	ds_load_2addr_b32 v[3:4], v4 offset0:64 offset1:224
	v_mul_f16_e32 v2, v77, v2
	v_fma_f16 v6, v73, v5, -v6
	v_mul_f16_e32 v9, v76, v5
	v_cvt_f32_f16_e32 v7, v7
	s_delay_alu instid0(VALU_DEP_4) | instskip(NEXT) | instid1(VALU_DEP_4)
	v_fmac_f16_e32 v2, v74, v0
	v_cvt_f32_f16_e32 v0, v6
	s_delay_alu instid0(VALU_DEP_4) | instskip(NEXT) | instid1(VALU_DEP_4)
	v_fmac_f16_e32 v9, v73, v1
	v_cvt_f64_f32_e32 v[5:6], v7
	s_delay_alu instid0(VALU_DEP_4) | instskip(NEXT) | instid1(VALU_DEP_4)
	v_cvt_f32_f16_e32 v2, v2
	v_cvt_f64_f32_e32 v[7:8], v0
	s_delay_alu instid0(VALU_DEP_2) | instskip(SKIP_4) | instid1(VALU_DEP_3)
	v_cvt_f64_f32_e32 v[0:1], v2
	v_cvt_f32_f16_e32 v2, v9
	s_wait_dscnt 0x0
	v_lshrrev_b32_e32 v11, 16, v3
	v_mul_f16_e32 v12, v75, v3
	v_cvt_f64_f32_e32 v[9:10], v2
	s_delay_alu instid0(VALU_DEP_3) | instskip(NEXT) | instid1(VALU_DEP_3)
	v_mul_f16_e32 v2, v75, v11
	v_fma_f16 v11, v72, v11, -v12
	s_delay_alu instid0(VALU_DEP_2) | instskip(NEXT) | instid1(VALU_DEP_2)
	v_fmac_f16_e32 v2, v72, v3
	v_cvt_f32_f16_e32 v15, v11
	v_mad_co_u64_u32 v[11:12], null, s4, v70, 0
	s_delay_alu instid0(VALU_DEP_3) | instskip(SKIP_1) | instid1(VALU_DEP_4)
	v_cvt_f32_f16_e32 v13, v2
	v_mad_co_u64_u32 v[2:3], null, s6, v33, 0
	v_cvt_f64_f32_e32 v[15:16], v15
	s_delay_alu instid0(VALU_DEP_3) | instskip(NEXT) | instid1(VALU_DEP_3)
	v_cvt_f64_f32_e32 v[13:14], v13
	v_mad_co_u64_u32 v[17:18], null, s7, v33, v[3:4]
	s_wait_alu 0xfffe
	v_mul_f64_e32 v[5:6], s[8:9], v[5:6]
	v_mul_f64_e32 v[7:8], s[8:9], v[7:8]
	s_delay_alu instid0(VALU_DEP_3) | instskip(SKIP_1) | instid1(VALU_DEP_2)
	v_mov_b32_e32 v3, v17
	v_mul_f64_e32 v[0:1], s[8:9], v[0:1]
	v_lshlrev_b64_e32 v[2:3], 2, v[2:3]
	v_mul_f64_e32 v[9:10], s[8:9], v[9:10]
	s_delay_alu instid0(VALU_DEP_2) | instskip(SKIP_1) | instid1(VALU_DEP_3)
	v_add_co_u32 v2, s0, s10, v2
	s_wait_alu 0xf1ff
	v_add_co_ci_u32_e64 v3, s0, s11, v3, s0
	s_mul_i32 s10, s5, 0x500
	v_mul_f64_e32 v[15:16], s[8:9], v[15:16]
	v_mad_co_u64_u32 v[18:19], null, s5, v70, v[12:13]
	v_mul_f64_e32 v[13:14], s[8:9], v[13:14]
	v_lshrrev_b32_e32 v19, 16, v4
	v_bfe_u32 v21, v6, 20, 11
	s_delay_alu instid0(VALU_DEP_4)
	v_mov_b32_e32 v12, v18
	v_and_or_b32 v5, 0x1ff, v6, v5
	v_and_or_b32 v7, 0x1ff, v8, v7
	v_lshrrev_b32_e32 v20, 8, v6
	v_sub_nc_u32_e32 v26, 0x3f1, v21
	v_add_nc_u32_e32 v21, 0xfffffc10, v21
	v_lshlrev_b64_e32 v[11:12], 2, v[11:12]
	v_and_or_b32 v0, 0x1ff, v1, v0
	v_bfe_u32 v25, v1, 20, 11
	v_lshrrev_b32_e32 v24, 8, v1
	v_lshrrev_b32_e32 v22, 8, v8
	v_bfe_u32 v23, v8, 20, 11
	v_add_co_u32 v11, s0, v2, v11
	s_wait_alu 0xf1ff
	v_add_co_ci_u32_e64 v12, s0, v3, v12, s0
	v_cmp_ne_u32_e64 s0, 0, v5
	v_and_or_b32 v9, 0x1ff, v10, v9
	v_sub_nc_u32_e32 v30, 0x3f1, v25
	v_lshrrev_b32_e32 v27, 8, v10
	v_bfe_u32 v28, v10, 20, 11
	s_wait_alu 0xf1ff
	v_cndmask_b32_e64 v5, 0, 1, s0
	v_cmp_ne_u32_e64 s0, 0, v7
	v_sub_nc_u32_e32 v29, 0x3f1, v23
	v_add_nc_u32_e32 v25, 0xfffffc10, v25
	v_add_nc_u32_e32 v23, 0xfffffc10, v23
	v_and_or_b32 v5, 0xffe, v20, v5
	s_wait_alu 0xf1ff
	v_cndmask_b32_e64 v7, 0, 1, s0
	v_cmp_ne_u32_e64 s0, 0, v0
	v_med3_i32 v20, v26, 0, 13
	v_sub_nc_u32_e32 v26, 0x3f1, v28
	v_lshl_or_b32 v33, v21, 12, v5
	v_and_or_b32 v13, 0x1ff, v14, v13
	s_wait_alu 0xf1ff
	v_cndmask_b32_e64 v0, 0, 1, s0
	v_cmp_ne_u32_e64 s0, 0, v9
	v_and_or_b32 v7, 0xffe, v22, v7
	v_add_nc_u32_e32 v28, 0xfffffc10, v28
	v_med3_i32 v22, v29, 0, 13
	v_and_or_b32 v0, 0xffe, v24, v0
	s_wait_alu 0xf1ff
	v_cndmask_b32_e64 v9, 0, 1, s0
	v_cmp_ne_u32_e64 s0, 0, v5
	v_med3_i32 v24, v30, 0, 13
	v_or_b32_e32 v30, 0x1000, v5
	v_or_b32_e32 v35, 0x1000, v0
	v_and_or_b32 v9, 0xffe, v27, v9
	s_wait_alu 0xf1ff
	v_cndmask_b32_e64 v5, 0, 1, s0
	v_cmp_ne_u32_e64 s0, 0, v13
	v_lshrrev_b32_e32 v37, v20, v30
	v_or_b32_e32 v27, 0x1000, v7
	v_lshl_or_b32 v36, v25, 12, v0
	v_lshrrev_b32_e32 v40, v24, v35
	s_wait_alu 0xf1ff
	v_cndmask_b32_e64 v13, 0, 1, s0
	v_cmp_ne_u32_e64 s0, 0, v0
	v_lshlrev_b32_e32 v20, v20, v37
	v_med3_i32 v26, v26, 0, 13
	v_or_b32_e32 v38, 0x1000, v9
	v_lshl_or_b32 v39, v28, 12, v9
	s_wait_alu 0xf1ff
	v_cndmask_b32_e64 v0, 0, 1, s0
	v_cmp_ne_u32_e64 s0, 0, v9
	v_lshrrev_b32_e32 v41, v22, v27
	v_lshlrev_b32_e32 v24, v24, v40
	v_lshrrev_b32_e32 v42, v26, v38
	v_lshl_or_b32 v34, v23, 12, v7
	s_wait_alu 0xf1ff
	v_cndmask_b32_e64 v9, 0, 1, s0
	v_cmp_ne_u32_e64 s0, v20, v30
	v_lshlrev_b32_e32 v22, v22, v41
	v_lshlrev_b32_e32 v26, v26, v42
	v_lshl_or_b32 v0, v0, 9, 0x7c00
	v_lshrrev_b32_e32 v1, 16, v1
	s_wait_alu 0xf1ff
	v_cndmask_b32_e64 v20, 0, 1, s0
	v_cmp_ne_u32_e64 s0, v24, v35
	v_lshl_or_b32 v5, v5, 9, 0x7c00
	v_mul_f16_e32 v17, v71, v19
	v_lshrrev_b32_e32 v6, 16, v6
	v_or_b32_e32 v20, v37, v20
	s_wait_alu 0xf1ff
	v_cndmask_b32_e64 v24, 0, 1, s0
	v_cmp_ne_u32_e64 s0, v22, v27
	v_fmac_f16_e32 v17, v69, v4
	v_lshrrev_b32_e32 v29, 8, v14
	v_mul_f16_e32 v4, v71, v4
	v_or_b32_e32 v24, v40, v24
	s_wait_alu 0xf1ff
	v_cndmask_b32_e64 v22, 0, 1, s0
	v_cmp_ne_u32_e64 s0, v26, v38
	v_cvt_f32_f16_e32 v17, v17
	v_and_or_b32 v13, 0xffe, v29, v13
	v_fma_f16 v4, v69, v19, -v4
	v_or_b32_e32 v22, v41, v22
	s_wait_alu 0xf1ff
	v_cndmask_b32_e64 v26, 0, 1, s0
	v_cmp_gt_i32_e64 s0, 1, v21
	v_cvt_f64_f32_e32 v[17:18], v17
	v_lshrrev_b32_e32 v10, 16, v10
	v_and_or_b32 v15, 0x1ff, v16, v15
	v_or_b32_e32 v26, v42, v26
	s_wait_alu 0xf1ff
	v_cndmask_b32_e64 v20, v33, v20, s0
	v_cmp_gt_i32_e64 s0, 1, v25
	v_bfe_u32 v19, v16, 20, 11
	s_delay_alu instid0(VALU_DEP_3) | instskip(SKIP_1) | instid1(VALU_DEP_3)
	v_and_b32_e32 v27, 7, v20
	s_wait_alu 0xf1ff
	v_cndmask_b32_e64 v24, v36, v24, s0
	v_cmp_gt_i32_e64 s0, 1, v23
	v_lshrrev_b32_e32 v20, 2, v20
	v_cmp_lt_i32_e64 s2, 5, v27
	s_delay_alu instid0(VALU_DEP_4)
	v_and_b32_e32 v30, 7, v24
	s_wait_alu 0xf1ff
	v_cndmask_b32_e64 v22, v34, v22, s0
	v_cmp_gt_i32_e64 s0, 1, v28
	v_lshrrev_b32_e32 v24, 2, v24
	v_cmp_eq_u32_e64 s3, 3, v27
	v_cmp_eq_u32_e64 s1, 3, v30
	v_and_b32_e32 v33, 7, v22
	s_wait_alu 0xf1ff
	v_cndmask_b32_e64 v26, v39, v26, s0
	v_cmp_lt_i32_e64 s0, 5, v30
	s_delay_alu instid0(VALU_DEP_2) | instskip(NEXT) | instid1(VALU_DEP_2)
	v_and_b32_e32 v27, 7, v26
	s_or_b32 s0, s1, s0
	v_cmp_gt_i32_e64 s1, 31, v21
	s_wait_alu 0xfffe
	v_add_co_ci_u32_e64 v24, s0, 0, v24, s0
	s_or_b32 s0, s3, s2
	v_cmp_eq_u32_e64 s2, 0x40f, v21
	s_wait_alu 0xfffe
	v_add_co_ci_u32_e64 v20, s0, 0, v20, s0
	v_cmp_gt_i32_e64 s0, 31, v25
	s_delay_alu instid0(VALU_DEP_2) | instskip(SKIP_2) | instid1(VALU_DEP_3)
	v_cndmask_b32_e64 v20, 0x7c00, v20, s1
	v_cmp_eq_u32_e64 s1, 0x40f, v25
	s_wait_alu 0xf1ff
	v_cndmask_b32_e64 v24, 0x7c00, v24, s0
	v_cmp_lt_i32_e64 s0, 5, v27
	v_cndmask_b32_e64 v5, v20, v5, s2
	v_cmp_eq_u32_e64 s2, 0x40f, v28
	s_delay_alu instid0(VALU_DEP_4)
	v_cndmask_b32_e64 v0, v24, v0, s1
	v_cmp_eq_u32_e64 s1, 3, v27
	v_lshrrev_b32_e32 v24, 2, v26
	v_and_or_b32 v5, 0x8000, v6, v5
	v_lshl_or_b32 v6, v9, 9, 0x7c00
	v_and_or_b32 v0, 0x8000, v1, v0
	s_or_b32 s0, s1, s0
	v_cmp_gt_i32_e64 s1, 31, v28
	s_wait_alu 0xfffe
	v_add_co_ci_u32_e64 v1, s0, 0, v24, s0
	v_and_b32_e32 v0, 0xffff, v0
	v_cmp_lt_i32_e64 s0, 5, v33
	v_or_b32_e32 v9, 0x1000, v13
	s_wait_alu 0xf1ff
	v_cndmask_b32_e64 v1, 0x7c00, v1, s1
	v_cmp_eq_u32_e64 s1, 3, v33
	v_lshl_or_b32 v0, v5, 16, v0
	v_lshrrev_b32_e32 v5, 2, v22
	s_delay_alu instid0(VALU_DEP_4) | instskip(NEXT) | instid1(VALU_DEP_4)
	v_cndmask_b32_e64 v1, v1, v6, s2
	s_or_b32 s0, s1, s0
	global_store_b32 v[11:12], v0, off
	s_wait_alu 0xfffe
	v_add_co_ci_u32_e64 v0, s0, 0, v5, s0
	v_cmp_ne_u32_e64 s0, 0, v7
	v_bfe_u32 v5, v14, 20, 11
	v_and_or_b32 v10, 0x8000, v10, v1
	s_mul_u64 s[2:3], s[4:5], 0xa0
	v_lshrrev_b32_e32 v14, 16, v14
	v_cndmask_b32_e64 v6, 0, 1, s0
	v_cmp_gt_i32_e64 s0, 31, v23
	v_sub_nc_u32_e32 v7, 0x3f1, v5
	v_add_nc_u32_e32 v20, 0xfffffc10, v5
	s_wait_alu 0xfffe
	s_lshl_b64 s[6:7], s[2:3], 2
	v_lshl_or_b32 v6, v6, 9, 0x7c00
	v_cndmask_b32_e64 v0, 0x7c00, v0, s0
	v_cmp_eq_u32_e64 s0, 0x40f, v23
	v_med3_i32 v7, v7, 0, 13
	s_wait_alu 0xf1ff
	s_delay_alu instid0(VALU_DEP_2)
	v_cndmask_b32_e64 v6, v0, v6, s0
	v_cvt_f32_f16_e32 v0, v4
	v_lshrrev_b32_e32 v4, 16, v8
	v_lshrrev_b32_e32 v8, v7, v9
	v_cmp_ne_u32_e64 s0, 0, v15
	v_lshrrev_b32_e32 v15, 8, v16
	v_cvt_f64_f32_e32 v[0:1], v0
	v_and_or_b32 v6, 0x8000, v4, v6
	v_lshlrev_b32_e32 v4, v7, v8
	s_wait_alu 0xf1ff
	v_cndmask_b32_e64 v7, 0, 1, s0
	v_lshrrev_b32_e32 v16, 16, v16
	s_delay_alu instid0(VALU_DEP_3) | instskip(SKIP_1) | instid1(VALU_DEP_4)
	v_cmp_ne_u32_e64 s0, v4, v9
	v_mul_f64_e32 v[4:5], s[8:9], v[17:18]
	v_and_or_b32 v15, 0xffe, v15, v7
	v_sub_nc_u32_e32 v7, 0x3f1, v19
	s_wait_alu 0xf1ff
	v_cndmask_b32_e64 v9, 0, 1, s0
	v_cmp_gt_i32_e64 s0, 1, v20
	v_or_b32_e32 v17, 0x1000, v15
	v_med3_i32 v18, v7, 0, 13
	v_and_b32_e32 v7, 0xffff, v10
	v_or_b32_e32 v8, v8, v9
	v_lshl_or_b32 v9, v20, 12, v13
	v_add_nc_u32_e32 v10, 0xa00, v54
	v_lshrrev_b32_e32 v22, v18, v17
	v_lshl_or_b32 v23, v6, 16, v7
	s_wait_alu 0xf1ff
	v_cndmask_b32_e64 v21, v9, v8, s0
	ds_load_2addr_b32 v[6:7], v10 offset1:160
	s_wait_alu 0xfffe
	v_add_co_u32 v8, s0, v11, s6
	v_lshlrev_b32_e32 v18, v18, v22
	v_and_b32_e32 v10, 7, v21
	s_wait_alu 0xf1ff
	v_add_co_ci_u32_e64 v9, s0, s7, v12, s0
	s_delay_alu instid0(VALU_DEP_3) | instskip(NEXT) | instid1(VALU_DEP_3)
	v_cmp_ne_u32_e64 s2, v18, v17
	v_cmp_lt_i32_e64 s0, 5, v10
	v_cmp_eq_u32_e64 s1, 3, v10
	v_lshrrev_b32_e32 v10, 2, v21
	v_add_nc_u32_e32 v17, 0xfffffc10, v19
	s_wait_alu 0xf1ff
	v_cndmask_b32_e64 v11, 0, 1, s2
	v_mul_f64_e32 v[0:1], s[8:9], v[0:1]
	s_or_b32 s0, s1, s0
	s_wait_alu 0xfffe
	v_add_co_ci_u32_e64 v10, s0, 0, v10, s0
	v_cmp_ne_u32_e64 s0, 0, v13
	v_or_b32_e32 v11, v22, v11
	v_lshl_or_b32 v12, v17, 12, v15
	s_wait_dscnt 0x0
	v_lshrrev_b32_e32 v18, 16, v6
	v_and_or_b32 v4, 0x1ff, v5, v4
	s_wait_alu 0xf1ff
	v_cndmask_b32_e64 v13, 0, 1, s0
	v_cmp_gt_i32_e64 s0, 1, v17
	v_lshrrev_b32_e32 v21, 8, v5
	v_bfe_u32 v22, v5, 20, 11
	s_delay_alu instid0(VALU_DEP_4) | instskip(SKIP_4) | instid1(VALU_DEP_3)
	v_lshl_or_b32 v13, v13, 9, 0x7c00
	s_wait_alu 0xf1ff
	v_cndmask_b32_e64 v12, v12, v11, s0
	v_cmp_gt_i32_e64 s0, 31, v20
	v_mul_f16_e32 v11, v68, v18
	v_and_b32_e32 v19, 7, v12
	s_wait_alu 0xf1ff
	s_delay_alu instid0(VALU_DEP_3)
	v_cndmask_b32_e64 v10, 0x7c00, v10, s0
	v_cmp_ne_u32_e64 s0, 0, v4
	v_fmac_f16_e32 v11, v67, v6
	v_lshrrev_b32_e32 v12, 2, v12
	v_cmp_eq_u32_e64 s1, 3, v19
	v_mul_f16_e32 v6, v68, v6
	s_wait_alu 0xf1ff
	v_cndmask_b32_e64 v4, 0, 1, s0
	v_cmp_eq_u32_e64 s0, 0x40f, v20
	v_cvt_f32_f16_e32 v11, v11
	v_fma_f16 v6, v67, v18, -v6
	s_delay_alu instid0(VALU_DEP_4)
	v_and_or_b32 v4, 0xffe, v21, v4
	s_wait_alu 0xf1ff
	v_cndmask_b32_e64 v20, v10, v13, s0
	v_sub_nc_u32_e32 v13, 0x3f1, v22
	v_cmp_lt_i32_e64 s0, 5, v19
	v_cvt_f64_f32_e32 v[10:11], v11
	v_or_b32_e32 v19, 0x1000, v4
	v_and_or_b32 v0, 0x1ff, v1, v0
	v_med3_i32 v13, v13, 0, 13
	s_or_b32 s0, s1, s0
	v_lshrrev_b32_e32 v18, 8, v1
	s_wait_alu 0xfffe
	v_add_co_ci_u32_e64 v21, s0, 0, v12, s0
	v_lshrrev_b32_e32 v12, v13, v19
	v_cmp_ne_u32_e64 s0, 0, v15
	v_bfe_u32 v24, v1, 20, 11
	v_cvt_f32_f16_e32 v6, v6
	v_and_or_b32 v14, 0x8000, v14, v20
	v_lshlrev_b32_e32 v13, v13, v12
	s_wait_alu 0xf1ff
	v_cndmask_b32_e64 v15, 0, 1, s0
	v_cmp_ne_u32_e64 s0, 0, v0
	v_and_b32_e32 v14, 0xffff, v14
	s_delay_alu instid0(VALU_DEP_3) | instskip(SKIP_1) | instid1(VALU_DEP_3)
	v_lshl_or_b32 v15, v15, 9, 0x7c00
	s_wait_alu 0xf1ff
	v_cndmask_b32_e64 v0, 0, 1, s0
	v_cmp_ne_u32_e64 s0, v13, v19
	v_add_nc_u32_e32 v19, 0xfffffc10, v22
	s_delay_alu instid0(VALU_DEP_3) | instskip(SKIP_1) | instid1(VALU_DEP_3)
	v_and_or_b32 v0, 0xffe, v18, v0
	s_wait_alu 0xf1ff
	v_cndmask_b32_e64 v13, 0, 1, s0
	v_sub_nc_u32_e32 v18, 0x3f1, v24
	v_cmp_gt_i32_e64 s0, 31, v17
	v_or_b32_e32 v25, 0x1000, v0
	s_delay_alu instid0(VALU_DEP_4)
	v_or_b32_e32 v22, v12, v13
	v_cvt_f64_f32_e32 v[12:13], v6
	v_lshl_or_b32 v6, v19, 12, v4
	v_med3_i32 v18, v18, 0, 13
	s_wait_alu 0xf1ff
	v_cndmask_b32_e64 v21, 0x7c00, v21, s0
	v_cmp_gt_i32_e64 s0, 1, v19
	v_mul_f64_e32 v[10:11], s[8:9], v[10:11]
	s_wait_alu 0xf1ff
	s_delay_alu instid0(VALU_DEP_2) | instskip(SKIP_2) | instid1(VALU_DEP_3)
	v_cndmask_b32_e64 v6, v6, v22, s0
	v_lshrrev_b32_e32 v22, v18, v25
	v_cmp_eq_u32_e64 s0, 0x40f, v17
	v_and_b32_e32 v20, 7, v6
	s_delay_alu instid0(VALU_DEP_3) | instskip(SKIP_1) | instid1(VALU_DEP_3)
	v_lshlrev_b32_e32 v18, v18, v22
	s_wait_alu 0xf1ff
	v_cndmask_b32_e64 v15, v21, v15, s0
	v_lshrrev_b32_e32 v6, 2, v6
	v_cmp_lt_i32_e64 s0, 5, v20
	v_cmp_ne_u32_e64 s1, v18, v25
	v_add_nc_u32_e32 v18, 0xfffffc10, v24
	v_and_or_b32 v15, 0x8000, v16, v15
	s_wait_alu 0xf1ff
	s_delay_alu instid0(VALU_DEP_3)
	v_cndmask_b32_e64 v17, 0, 1, s1
	v_cmp_eq_u32_e64 s1, 3, v20
	v_lshrrev_b32_e32 v20, 16, v7
	v_lshl_or_b32 v21, v15, 16, v14
	v_lshrrev_b32_e32 v14, 16, v5
	v_or_b32_e32 v16, v22, v17
	s_or_b32 s0, s1, s0
	v_lshl_or_b32 v17, v18, 12, v0
	s_wait_alu 0xfffe
	v_add_co_ci_u32_e64 v6, s0, 0, v6, s0
	v_cmp_ne_u32_e64 s0, 0, v4
	v_mul_f64_e32 v[12:13], s[8:9], v[12:13]
	s_wait_alu 0xf1ff
	s_delay_alu instid0(VALU_DEP_2) | instskip(SKIP_2) | instid1(VALU_DEP_3)
	v_cndmask_b32_e64 v4, 0, 1, s0
	v_cmp_gt_i32_e64 s0, 1, v18
	v_and_or_b32 v10, 0x1ff, v11, v10
	v_lshl_or_b32 v4, v4, 9, 0x7c00
	s_wait_alu 0xf1ff
	s_delay_alu instid0(VALU_DEP_3) | instskip(SKIP_1) | instid1(VALU_DEP_2)
	v_cndmask_b32_e64 v16, v17, v16, s0
	v_cmp_gt_i32_e64 s0, 31, v19
	v_and_b32_e32 v17, 7, v16
	s_wait_alu 0xf1ff
	s_delay_alu instid0(VALU_DEP_2)
	v_cndmask_b32_e64 v6, 0x7c00, v6, s0
	v_cmp_eq_u32_e64 s0, 0x40f, v19
	v_lshrrev_b32_e32 v5, 2, v16
	v_bfe_u32 v16, v11, 20, 11
	v_cmp_eq_u32_e64 s1, 3, v17
	s_wait_alu 0xf1ff
	v_cndmask_b32_e64 v6, v6, v4, s0
	v_cmp_lt_i32_e64 s0, 5, v17
	v_mul_f16_e32 v4, v66, v20
	v_sub_nc_u32_e32 v17, 0x3f1, v16
	s_delay_alu instid0(VALU_DEP_4) | instskip(NEXT) | instid1(VALU_DEP_4)
	v_and_or_b32 v6, 0x8000, v14, v6
	s_or_b32 s0, s1, s0
	s_delay_alu instid0(VALU_DEP_3)
	v_fmac_f16_e32 v4, v65, v7
	s_wait_alu 0xfffe
	v_add_co_ci_u32_e64 v15, s0, 0, v5, s0
	v_cmp_ne_u32_e64 s0, 0, v10
	v_lshrrev_b32_e32 v10, 8, v11
	v_cvt_f32_f16_e32 v4, v4
	v_med3_i32 v17, v17, 0, 13
	v_mul_f16_e32 v7, v66, v7
	s_wait_alu 0xf1ff
	v_cndmask_b32_e64 v5, 0, 1, s0
	v_cmp_ne_u32_e64 s0, 0, v0
	v_lshrrev_b32_e32 v11, 16, v11
	v_and_or_b32 v12, 0x1ff, v13, v12
	v_fma_f16 v7, v65, v20, -v7
	v_and_or_b32 v10, 0xffe, v10, v5
	v_cvt_f64_f32_e32 v[4:5], v4
	s_wait_alu 0xf1ff
	v_cndmask_b32_e64 v0, 0, 1, s0
	v_cmp_gt_i32_e64 s0, 31, v18
	v_bfe_u32 v22, v13, 20, 11
	v_or_b32_e32 v19, 0x1000, v10
	v_cvt_f32_f16_e32 v7, v7
	v_lshl_or_b32 v0, v0, 9, 0x7c00
	s_wait_alu 0xf1ff
	v_cndmask_b32_e64 v15, 0x7c00, v15, s0
	v_cmp_eq_u32_e64 s0, 0x40f, v18
	v_lshrrev_b32_e32 v18, v17, v19
	s_wait_alu 0xf1ff
	s_delay_alu instid0(VALU_DEP_2) | instskip(SKIP_4) | instid1(VALU_DEP_3)
	v_cndmask_b32_e64 v14, v15, v0, s0
	v_lshrrev_b32_e32 v15, 16, v1
	v_add_co_u32 v0, s0, v8, s6
	s_wait_alu 0xf1ff
	v_add_co_ci_u32_e64 v1, s0, s7, v9, s0
	v_and_or_b32 v14, 0x8000, v15, v14
	v_and_b32_e32 v15, 0xffff, v6
	v_lshlrev_b32_e32 v6, v17, v18
	v_cmp_ne_u32_e64 s0, 0, v12
	v_lshrrev_b32_e32 v17, 8, v13
	s_delay_alu instid0(VALU_DEP_4) | instskip(SKIP_1) | instid1(VALU_DEP_3)
	v_lshl_or_b32 v25, v14, 16, v15
	s_wait_alu 0xf1ff
	v_cndmask_b32_e64 v12, 0, 1, s0
	v_cmp_ne_u32_e64 s0, v6, v19
	v_add_nc_u32_e32 v19, 0xfffffc10, v16
	v_sub_nc_u32_e32 v16, 0x3f1, v22
	s_delay_alu instid0(VALU_DEP_4)
	v_and_or_b32 v12, 0xffe, v17, v12
	s_wait_alu 0xf1ff
	v_cndmask_b32_e64 v6, 0, 1, s0
	v_cmp_gt_i32_e64 s0, 1, v19
	v_med3_i32 v24, v16, 0, 13
	v_add_nc_u32_e32 v16, 0xe00, v54
	v_or_b32_e32 v20, 0x1000, v12
	v_or_b32_e32 v17, v18, v6
	v_lshl_or_b32 v18, v19, 12, v10
	v_cvt_f64_f32_e32 v[6:7], v7
	v_mul_f64_e32 v[4:5], s[8:9], v[4:5]
	v_lshrrev_b32_e32 v26, v24, v20
	ds_load_2addr_b32 v[14:15], v16 offset0:64 offset1:224
	s_wait_alu 0xf1ff
	v_cndmask_b32_e64 v18, v18, v17, s0
	v_add_co_u32 v16, s0, v0, s6
	s_clause 0x1
	global_store_b32 v[8:9], v23, off
	global_store_b32 v[0:1], v21, off
	v_lshlrev_b32_e32 v0, v24, v26
	v_and_b32_e32 v27, 7, v18
	s_wait_alu 0xf1ff
	v_add_co_ci_u32_e64 v17, s0, s7, v1, s0
	v_lshrrev_b32_e32 v1, 2, v18
	v_cmp_ne_u32_e64 s2, v0, v20
	v_cmp_lt_i32_e64 s0, 5, v27
	v_cmp_eq_u32_e64 s1, 3, v27
	v_add_nc_u32_e32 v18, 0xfffffc10, v22
	global_store_b32 v[16:17], v25, off
	s_wait_alu 0xf1ff
	v_cndmask_b32_e64 v0, 0, 1, s2
	s_or_b32 s0, s1, s0
	v_lshl_or_b32 v8, v18, 12, v12
	s_wait_alu 0xfffe
	v_add_co_ci_u32_e64 v1, s0, 0, v1, s0
	v_cmp_ne_u32_e64 s0, 0, v10
	v_or_b32_e32 v0, v26, v0
	s_wait_dscnt 0x0
	v_lshrrev_b32_e32 v20, 16, v14
	s_wait_alu 0xf1ff
	v_cndmask_b32_e64 v9, 0, 1, s0
	v_cmp_gt_i32_e64 s0, 1, v18
	s_delay_alu instid0(VALU_DEP_3) | instskip(SKIP_1) | instid1(VALU_DEP_2)
	v_mul_f16_e32 v10, v64, v20
	s_wait_alu 0xf1ff
	v_cndmask_b32_e64 v8, v8, v0, s0
	v_cmp_gt_i32_e64 s0, 31, v19
	s_delay_alu instid0(VALU_DEP_3) | instskip(SKIP_2) | instid1(VALU_DEP_3)
	v_fmac_f16_e32 v10, v63, v14
	v_and_or_b32 v4, 0x1ff, v5, v4
	s_wait_alu 0xf1ff
	v_cndmask_b32_e64 v21, 0x7c00, v1, s0
	v_mul_f64_e32 v[0:1], s[8:9], v[6:7]
	v_lshl_or_b32 v6, v9, 9, 0x7c00
	v_and_b32_e32 v9, 7, v8
	v_cmp_eq_u32_e64 s0, 0x40f, v19
	v_cmp_ne_u32_e64 s1, 0, v4
	v_cvt_f32_f16_e32 v7, v10
	v_lshrrev_b32_e32 v19, 8, v5
	v_lshrrev_b32_e32 v8, 2, v8
	s_wait_alu 0xf1ff
	v_cndmask_b32_e64 v10, v21, v6, s0
	v_cmp_lt_i32_e64 s0, 5, v9
	v_cndmask_b32_e64 v4, 0, 1, s1
	v_cmp_eq_u32_e64 s1, 3, v9
	v_cvt_f64_f32_e32 v[6:7], v7
	v_bfe_u32 v21, v5, 20, 11
	v_and_or_b32 v25, 0x8000, v11, v10
	v_and_or_b32 v19, 0xffe, v19, v4
	s_or_b32 s0, s1, s0
	v_mul_f16_e32 v10, v64, v14
	v_sub_nc_u32_e32 v4, 0x3f1, v21
	s_wait_alu 0xfffe
	v_add_co_ci_u32_e64 v8, s0, 0, v8, s0
	v_cmp_ne_u32_e64 s0, 0, v12
	v_or_b32_e32 v12, 0x1000, v19
	v_med3_i32 v4, v4, 0, 13
	v_lshrrev_b32_e32 v14, 16, v13
	s_wait_alu 0xf1ff
	v_cndmask_b32_e64 v9, 0, 1, s0
	v_cmp_gt_i32_e64 s0, 31, v18
	v_lshrrev_b32_e32 v24, v4, v12
	s_delay_alu instid0(VALU_DEP_3) | instskip(SKIP_1) | instid1(VALU_DEP_3)
	v_lshl_or_b32 v23, v9, 9, 0x7c00
	s_wait_alu 0xf1ff
	v_cndmask_b32_e64 v22, 0x7c00, v8, s0
	v_mad_co_u64_u32 v[8:9], null, s4, v61, 0
	v_cmp_eq_u32_e64 s0, 0x40f, v18
	v_lshlrev_b32_e32 v11, v4, v24
	v_and_or_b32 v0, 0x1ff, v1, v0
	s_wait_alu 0xf1ff
	s_delay_alu instid0(VALU_DEP_3)
	v_cndmask_b32_e64 v18, v22, v23, s0
	v_mov_b32_e32 v4, v9
	v_fma_f16 v9, v63, v20, -v10
	v_cmp_ne_u32_e64 s0, v11, v12
	v_add_nc_u32_e32 v20, 0xfffffc10, v21
	v_lshrrev_b32_e32 v12, 8, v1
	v_bfe_u32 v21, v1, 20, 11
	v_cvt_f32_f16_e32 v9, v9
	s_wait_alu 0xf1ff
	v_cndmask_b32_e64 v10, 0, 1, s0
	v_cmp_ne_u32_e64 s0, 0, v0
	v_mul_f64_e32 v[6:7], s[8:9], v[6:7]
	v_lshl_or_b32 v23, v20, 12, v19
	v_and_or_b32 v14, 0x8000, v14, v18
	v_or_b32_e32 v22, v24, v10
	v_cvt_f64_f32_e32 v[10:11], v9
	s_wait_alu 0xf1ff
	v_cndmask_b32_e64 v0, 0, 1, s0
	v_sub_nc_u32_e32 v9, 0x3f1, v21
	v_cmp_gt_i32_e64 s0, 1, v20
	v_and_b32_e32 v18, 0xffff, v25
	s_delay_alu instid0(VALU_DEP_4)
	v_and_or_b32 v0, 0xffe, v12, v0
	v_mad_co_u64_u32 v[12:13], null, s5, v61, v[4:5]
	v_med3_i32 v13, v9, 0, 13
	s_wait_alu 0xf1ff
	v_cndmask_b32_e64 v22, v23, v22, s0
	v_or_b32_e32 v4, 0x1000, v0
	v_lshl_or_b32 v18, v14, 16, v18
	v_add_nc_u32_e32 v14, 0xfffffc10, v21
	v_lshrrev_b32_e32 v21, 16, v15
	v_mov_b32_e32 v9, v12
	v_lshrrev_b32_e32 v23, v13, v4
	v_and_b32_e32 v12, 7, v22
	v_lshrrev_b32_e32 v5, 16, v5
	s_delay_alu instid0(VALU_DEP_4) | instskip(NEXT) | instid1(VALU_DEP_4)
	v_lshlrev_b64_e32 v[8:9], 2, v[8:9]
	v_lshlrev_b32_e32 v13, v13, v23
	s_delay_alu instid0(VALU_DEP_4)
	v_cmp_lt_i32_e64 s0, 5, v12
	v_cmp_eq_u32_e64 s1, 3, v12
	v_lshrrev_b32_e32 v12, 2, v22
	v_mul_f16_e32 v22, v62, v21
	v_cmp_ne_u32_e64 s2, v13, v4
	v_lshl_or_b32 v13, v14, 12, v0
	s_or_b32 s0, s1, s0
	s_wait_alu 0xfffe
	v_add_co_ci_u32_e64 v12, s0, 0, v12, s0
	v_cndmask_b32_e64 v4, 0, 1, s2
	v_cmp_gt_i32_e64 s0, 31, v20
	v_fmac_f16_e32 v22, v60, v15
	v_and_or_b32 v6, 0x1ff, v7, v6
	v_bfe_u32 v25, v7, 20, 11
	v_or_b32_e32 v4, v23, v4
	s_wait_alu 0xf1ff
	v_cndmask_b32_e64 v23, 0x7c00, v12, s0
	v_cmp_gt_i32_e64 s0, 1, v14
	v_mul_f64_e32 v[10:11], s[8:9], v[10:11]
	v_cvt_f32_f16_e32 v12, v22
	v_lshrrev_b32_e32 v22, 8, v7
	v_cmp_eq_u32_e64 s2, 0x40f, v20
	s_wait_alu 0xf1ff
	v_cndmask_b32_e64 v4, v13, v4, s0
	v_cmp_ne_u32_e64 s0, 0, v19
	v_cvt_f64_f32_e32 v[12:13], v12
	v_lshrrev_b32_e32 v7, 16, v7
	s_delay_alu instid0(VALU_DEP_4)
	v_and_b32_e32 v24, 7, v4
	s_wait_alu 0xf1ff
	v_cndmask_b32_e64 v19, 0, 1, s0
	v_cmp_ne_u32_e64 s0, 0, v6
	v_lshrrev_b32_e32 v4, 2, v4
	v_cmp_eq_u32_e64 s1, 3, v24
	s_delay_alu instid0(VALU_DEP_4) | instskip(SKIP_3) | instid1(VALU_DEP_3)
	v_lshl_or_b32 v19, v19, 9, 0x7c00
	s_wait_alu 0xf1ff
	v_cndmask_b32_e64 v6, 0, 1, s0
	v_cmp_lt_i32_e64 s0, 5, v24
	v_cndmask_b32_e64 v19, v23, v19, s2
	s_delay_alu instid0(VALU_DEP_3) | instskip(SKIP_1) | instid1(VALU_DEP_4)
	v_and_or_b32 v6, 0xffe, v22, v6
	v_sub_nc_u32_e32 v22, 0x3f1, v25
	s_or_b32 s0, s1, s0
	s_wait_alu 0xfffe
	v_add_co_ci_u32_e64 v4, s0, 0, v4, s0
	v_or_b32_e32 v20, 0x1000, v6
	v_med3_i32 v22, v22, 0, 13
	v_cmp_ne_u32_e64 s0, 0, v0
	v_and_or_b32 v19, 0x8000, v5, v19
	v_mul_f16_e32 v5, v62, v15
	s_delay_alu instid0(VALU_DEP_4) | instskip(SKIP_3) | instid1(VALU_DEP_3)
	v_lshrrev_b32_e32 v23, v22, v20
	s_wait_alu 0xf1ff
	v_cndmask_b32_e64 v0, 0, 1, s0
	v_cmp_gt_i32_e64 s0, 31, v14
	v_lshlrev_b32_e32 v22, v22, v23
	s_delay_alu instid0(VALU_DEP_3) | instskip(SKIP_1) | instid1(VALU_DEP_3)
	v_lshl_or_b32 v0, v0, 9, 0x7c00
	s_wait_alu 0xf1ff
	v_cndmask_b32_e64 v4, 0x7c00, v4, s0
	v_cmp_eq_u32_e64 s0, 0x40f, v14
	v_bfe_u32 v24, v11, 20, 11
	s_wait_alu 0xf1ff
	s_delay_alu instid0(VALU_DEP_2)
	v_cndmask_b32_e64 v14, v4, v0, s0
	v_cmp_ne_u32_e64 s0, v22, v20
	v_fma_f16 v4, v60, v21, -v5
	v_and_or_b32 v5, 0x1ff, v11, v10
	v_add_nc_u32_e32 v20, 0xfffffc10, v25
	v_lshrrev_b32_e32 v10, 16, v1
	s_wait_alu 0xf1ff
	v_cndmask_b32_e64 v0, 0, 1, s0
	v_cvt_f32_f16_e32 v4, v4
	v_cmp_ne_u32_e64 s0, 0, v5
	v_lshl_or_b32 v21, v20, 12, v6
	v_and_or_b32 v10, 0x8000, v10, v14
	v_or_b32_e32 v15, v23, v0
	v_lshrrev_b32_e32 v23, 8, v11
	s_wait_alu 0xf1ff
	v_cndmask_b32_e64 v22, 0, 1, s0
	v_cvt_f64_f32_e32 v[4:5], v4
	v_mul_f64_e32 v[0:1], s[8:9], v[12:13]
	v_cmp_gt_i32_e64 s0, 1, v20
	v_sub_nc_u32_e32 v12, 0x3f1, v24
	v_and_or_b32 v22, 0xffe, v23, v22
	v_add_nc_u32_e32 v13, 0x1400, v54
	v_and_b32_e32 v14, 0xffff, v19
	s_wait_alu 0xf1ff
	v_cndmask_b32_e64 v21, v21, v15, s0
	v_med3_i32 v23, v12, 0, 13
	v_or_b32_e32 v19, 0x1000, v22
	v_add_co_u32 v8, s0, v2, v8
	s_delay_alu instid0(VALU_DEP_4)
	v_and_b32_e32 v15, 7, v21
	ds_load_2addr_b32 v[12:13], v13 offset1:160
	v_lshrrev_b32_e32 v25, v23, v19
	s_wait_alu 0xf1ff
	v_add_co_ci_u32_e64 v9, s0, v3, v9, s0
	v_cmp_lt_i32_e64 s0, 5, v15
	v_cmp_eq_u32_e64 s1, 3, v15
	v_lshl_or_b32 v10, v10, 16, v14
	v_mad_co_u64_u32 v[14:15], null, 0x500, s4, v[16:17]
	v_lshrrev_b32_e32 v16, 2, v21
	v_lshlrev_b32_e32 v17, v23, v25
	s_or_b32 s0, s1, s0
	v_lshrrev_b32_e32 v11, 16, v11
	s_wait_alu 0xfffe
	v_add_co_ci_u32_e64 v16, s0, 0, v16, s0
	v_cmp_ne_u32_e64 s0, v17, v19
	v_add_nc_u32_e32 v19, 0xfffffc10, v24
	v_add_nc_u32_e32 v15, s10, v15
	s_clause 0x1
	global_store_b32 v[8:9], v18, off
	global_store_b32 v[14:15], v10, off
	s_wait_alu 0xf1ff
	v_cndmask_b32_e64 v17, 0, 1, s0
	v_cmp_gt_i32_e64 s0, 31, v20
	s_wait_dscnt 0x0
	v_lshrrev_b32_e32 v23, 16, v12
	v_mul_f64_e32 v[4:5], s[8:9], v[4:5]
	v_and_or_b32 v0, 0x1ff, v1, v0
	v_bfe_u32 v26, v1, 20, 11
	s_wait_alu 0xf1ff
	v_cndmask_b32_e64 v21, 0x7c00, v16, s0
	v_cmp_ne_u32_e64 s0, 0, v6
	v_or_b32_e32 v16, v25, v17
	v_lshl_or_b32 v17, v19, 12, v22
	v_mul_f16_e32 v24, v59, v23
	v_sub_nc_u32_e32 v27, 0x3f1, v26
	s_wait_alu 0xf1ff
	v_cndmask_b32_e64 v6, 0, 1, s0
	v_cmp_gt_i32_e64 s0, 1, v19
	v_fmac_f16_e32 v24, v58, v12
	s_delay_alu instid0(VALU_DEP_3) | instskip(SKIP_1) | instid1(VALU_DEP_3)
	v_lshl_or_b32 v6, v6, 9, 0x7c00
	s_wait_alu 0xf1ff
	v_cndmask_b32_e64 v25, v17, v16, s0
	v_cmp_ne_u32_e64 s0, 0, v0
	v_lshrrev_b32_e32 v16, 8, v1
	v_cvt_f32_f16_e32 v17, v24
	v_lshrrev_b32_e32 v1, 16, v1
	v_and_b32_e32 v24, 7, v25
	s_wait_alu 0xf1ff
	v_cndmask_b32_e64 v0, 0, 1, s0
	v_cmp_eq_u32_e64 s0, 0x40f, v20
	s_delay_alu instid0(VALU_DEP_3) | instskip(NEXT) | instid1(VALU_DEP_3)
	v_cmp_eq_u32_e64 s1, 3, v24
	v_and_or_b32 v0, 0xffe, v16, v0
	v_cvt_f64_f32_e32 v[16:17], v17
	s_wait_alu 0xf1ff
	v_cndmask_b32_e64 v6, v21, v6, s0
	v_cmp_lt_i32_e64 s0, 5, v24
	v_med3_i32 v21, v27, 0, 13
	v_or_b32_e32 v20, 0x1000, v0
	s_delay_alu instid0(VALU_DEP_4) | instskip(SKIP_2) | instid1(VALU_DEP_3)
	v_and_or_b32 v24, 0x8000, v7, v6
	v_lshrrev_b32_e32 v6, 2, v25
	s_or_b32 s0, s1, s0
	v_lshrrev_b32_e32 v25, v21, v20
	v_mul_f16_e32 v7, v59, v12
	v_and_or_b32 v4, 0x1ff, v5, v4
	s_wait_alu 0xfffe
	v_add_co_ci_u32_e64 v6, s0, 0, v6, s0
	v_cmp_ne_u32_e64 s0, 0, v22
	v_lshlrev_b32_e32 v21, v21, v25
	v_fma_f16 v7, v58, v23, -v7
	v_lshrrev_b32_e32 v23, 8, v5
	s_wait_alu 0xf1ff
	v_cndmask_b32_e64 v12, 0, 1, s0
	v_cmp_gt_i32_e64 s0, 31, v19
	s_delay_alu instid0(VALU_DEP_2) | instskip(SKIP_1) | instid1(VALU_DEP_2)
	v_lshl_or_b32 v12, v12, 9, 0x7c00
	s_wait_alu 0xf1ff
	v_cndmask_b32_e64 v22, 0x7c00, v6, s0
	v_cmp_ne_u32_e64 s0, v21, v20
	v_cvt_f32_f16_e32 v6, v7
	v_add_nc_u32_e32 v21, 0xfffffc10, v26
	v_bfe_u32 v26, v5, 20, 11
	v_lshrrev_b32_e32 v5, 16, v5
	s_wait_alu 0xf1ff
	v_cndmask_b32_e64 v20, 0, 1, s0
	v_cmp_ne_u32_e64 s0, 0, v4
	v_cvt_f64_f32_e32 v[6:7], v6
	s_wait_alu 0xf1ff
	s_delay_alu instid0(VALU_DEP_2)
	v_cndmask_b32_e64 v4, 0, 1, s0
	v_cmp_eq_u32_e64 s0, 0x40f, v19
	v_or_b32_e32 v19, v25, v20
	v_sub_nc_u32_e32 v20, 0x3f1, v26
	v_mul_f64_e32 v[16:17], s[8:9], v[16:17]
	v_and_or_b32 v4, 0xffe, v23, v4
	s_wait_alu 0xf1ff
	v_cndmask_b32_e64 v12, v22, v12, s0
	v_lshl_or_b32 v22, v21, 12, v0
	v_cmp_gt_i32_e64 s0, 1, v21
	v_med3_i32 v20, v20, 0, 13
	v_or_b32_e32 v23, 0x1000, v4
	v_and_or_b32 v11, 0x8000, v11, v12
	s_wait_alu 0xf1ff
	v_cndmask_b32_e64 v19, v22, v19, s0
	v_and_b32_e32 v22, 0xffff, v24
	v_lshrrev_b32_e32 v12, v20, v23
	s_delay_alu instid0(VALU_DEP_3) | instskip(SKIP_1) | instid1(VALU_DEP_3)
	v_and_b32_e32 v24, 7, v19
	v_lshrrev_b32_e32 v9, 2, v19
	v_lshlrev_b32_e32 v8, v20, v12
	v_add_nc_u32_e32 v19, 0xfffffc10, v26
	v_lshl_or_b32 v18, v11, 16, v22
	v_cmp_lt_i32_e64 s0, 5, v24
	v_cmp_eq_u32_e64 s1, 3, v24
	v_cmp_ne_u32_e64 s2, v8, v23
	v_lshl_or_b32 v10, v19, 12, v4
	v_lshrrev_b32_e32 v11, 16, v13
	s_delay_alu instid0(VALU_DEP_4) | instskip(NEXT) | instid1(VALU_DEP_3)
	s_or_b32 s0, s1, s0
	v_cndmask_b32_e64 v8, 0, 1, s2
	s_wait_alu 0xfffe
	v_add_co_ci_u32_e64 v9, s0, 0, v9, s0
	v_cmp_ne_u32_e64 s0, 0, v0
	v_mul_f64_e32 v[6:7], s[8:9], v[6:7]
	v_or_b32_e32 v8, v12, v8
	s_wait_alu 0xf1ff
	s_delay_alu instid0(VALU_DEP_3) | instskip(SKIP_2) | instid1(VALU_DEP_3)
	v_cndmask_b32_e64 v0, 0, 1, s0
	v_cmp_gt_i32_e64 s0, 1, v19
	v_and_or_b32 v16, 0x1ff, v17, v16
	v_lshl_or_b32 v0, v0, 9, 0x7c00
	s_wait_alu 0xf1ff
	s_delay_alu instid0(VALU_DEP_3)
	v_cndmask_b32_e64 v10, v10, v8, s0
	v_mul_f16_e32 v8, v57, v11
	v_cmp_gt_i32_e64 s0, 31, v21
	v_cmp_ne_u32_e64 s1, 0, v16
	v_lshrrev_b32_e32 v16, 8, v17
	v_and_b32_e32 v12, 7, v10
	v_fmac_f16_e32 v8, v56, v13
	v_mul_f16_e32 v13, v57, v13
	s_wait_alu 0xf1ff
	v_cndmask_b32_e64 v9, 0x7c00, v9, s0
	v_cmp_eq_u32_e64 s0, 0x40f, v21
	v_bfe_u32 v20, v17, 20, 11
	v_cvt_f32_f16_e32 v8, v8
	v_fma_f16 v11, v56, v11, -v13
	v_cndmask_b32_e64 v13, 0, 1, s1
	s_wait_alu 0xf1ff
	v_cndmask_b32_e64 v0, v9, v0, s0
	v_cmp_lt_i32_e64 s0, 5, v12
	v_cvt_f64_f32_e32 v[8:9], v8
	v_cvt_f32_f16_e32 v11, v11
	v_cmp_eq_u32_e64 s1, 3, v12
	v_lshrrev_b32_e32 v12, 2, v10
	v_and_or_b32 v13, 0xffe, v16, v13
	v_sub_nc_u32_e32 v16, 0x3f1, v20
	v_cvt_f64_f32_e32 v[10:11], v11
	s_or_b32 s0, s1, s0
	v_and_or_b32 v23, 0x8000, v1, v0
	s_wait_alu 0xfffe
	v_add_co_ci_u32_e64 v12, s0, 0, v12, s0
	v_cmp_ne_u32_e64 s0, 0, v4
	v_or_b32_e32 v21, 0x1000, v13
	v_med3_i32 v16, v16, 0, 13
	v_and_or_b32 v6, 0x1ff, v7, v6
	v_and_b32_e32 v23, 0xffff, v23
	s_wait_alu 0xf1ff
	v_cndmask_b32_e64 v4, 0, 1, s0
	v_cmp_gt_i32_e64 s0, 31, v19
	v_lshrrev_b32_e32 v22, v16, v21
	v_lshrrev_b32_e32 v17, 16, v17
	s_delay_alu instid0(VALU_DEP_4)
	v_lshl_or_b32 v4, v4, 9, 0x7c00
	s_wait_alu 0xf1ff
	v_cndmask_b32_e64 v12, 0x7c00, v12, s0
	v_cmp_eq_u32_e64 s0, 0x40f, v19
	v_lshlrev_b32_e32 v0, v16, v22
	v_add_nc_u32_e32 v16, 0xfffffc10, v20
	s_wait_alu 0xf1ff
	s_delay_alu instid0(VALU_DEP_3)
	v_cndmask_b32_e64 v4, v12, v4, s0
	v_cmp_ne_u32_e64 s0, 0, v6
	v_lshrrev_b32_e32 v6, 8, v7
	v_bfe_u32 v12, v7, 20, 11
	v_lshrrev_b32_e32 v7, 16, v7
	v_and_or_b32 v24, 0x8000, v5, v4
	s_wait_alu 0xf1ff
	v_cndmask_b32_e64 v1, 0, 1, s0
	v_cmp_ne_u32_e64 s0, v0, v21
	v_lshl_or_b32 v21, v16, 12, v13
	v_sub_nc_u32_e32 v19, 0x3f1, v12
	s_delay_alu instid0(VALU_DEP_4)
	v_and_or_b32 v6, 0xffe, v6, v1
	s_wait_alu 0xf1ff
	v_cndmask_b32_e64 v0, 0, 1, s0
	v_cmp_gt_i32_e64 s0, 1, v16
	v_med3_i32 v19, v19, 0, 13
	v_mul_f64_e32 v[4:5], s[8:9], v[10:11]
	s_delay_alu instid0(VALU_DEP_4) | instskip(SKIP_3) | instid1(VALU_DEP_3)
	v_or_b32_e32 v20, v22, v0
	v_mul_f64_e32 v[0:1], s[8:9], v[8:9]
	v_or_b32_e32 v22, 0x1000, v6
	s_wait_alu 0xf1ff
	v_cndmask_b32_e64 v20, v21, v20, s0
	v_add_co_u32 v8, s0, v14, s6
	s_wait_alu 0xf1ff
	v_add_co_ci_u32_e64 v9, s0, s7, v15, s0
	s_delay_alu instid0(VALU_DEP_3) | instskip(NEXT) | instid1(VALU_DEP_3)
	v_and_b32_e32 v14, 7, v20
	v_add_co_u32 v10, s0, v8, s6
	v_lshrrev_b32_e32 v21, v19, v22
	s_wait_alu 0xf1ff
	v_add_co_ci_u32_e64 v11, s0, s7, v9, s0
	v_cmp_lt_i32_e64 s0, 5, v14
	v_cmp_eq_u32_e64 s1, 3, v14
	v_lshrrev_b32_e32 v14, 2, v20
	v_lshlrev_b32_e32 v19, v19, v21
	v_add_nc_u32_e32 v20, 0xfffffc10, v12
	v_lshl_or_b32 v15, v24, 16, v23
	s_or_b32 s0, s1, s0
	s_wait_alu 0xfffe
	v_add_co_ci_u32_e64 v12, s0, 0, v14, s0
	v_cmp_ne_u32_e64 s2, v19, v22
	v_cmp_ne_u32_e64 s0, 0, v13
	s_wait_alu 0xf1ff
	s_delay_alu instid0(VALU_DEP_2) | instskip(NEXT) | instid1(VALU_DEP_2)
	v_cndmask_b32_e64 v19, 0, 1, s2
	v_cndmask_b32_e64 v13, 0, 1, s0
	v_cmp_gt_i32_e64 s0, 31, v16
	s_delay_alu instid0(VALU_DEP_3) | instskip(SKIP_2) | instid1(VALU_DEP_3)
	v_or_b32_e32 v14, v21, v19
	v_lshl_or_b32 v19, v20, 12, v6
	s_wait_alu 0xf1ff
	v_cndmask_b32_e64 v12, 0x7c00, v12, s0
	v_cmp_gt_i32_e64 s0, 1, v20
	v_lshl_or_b32 v13, v13, 9, 0x7c00
	v_and_or_b32 v0, 0x1ff, v1, v0
	v_and_or_b32 v4, 0x1ff, v5, v4
	v_bfe_u32 v22, v5, 20, 11
	s_wait_alu 0xf1ff
	v_cndmask_b32_e64 v14, v19, v14, s0
	v_cmp_eq_u32_e64 s0, 0x40f, v16
	v_bfe_u32 v19, v1, 20, 11
	v_cmp_ne_u32_e64 s2, 0, v4
	s_wait_alu 0xf1ff
	s_delay_alu instid0(VALU_DEP_3)
	v_cndmask_b32_e64 v16, v12, v13, s0
	v_cmp_ne_u32_e64 s0, 0, v0
	v_and_b32_e32 v12, 7, v14
	v_lshrrev_b32_e32 v13, 8, v1
	v_cndmask_b32_e64 v4, 0, 1, s2
	v_and_or_b32 v16, 0x8000, v17, v16
	s_wait_alu 0xf1ff
	v_cndmask_b32_e64 v0, 0, 1, s0
	v_cmp_lt_i32_e64 s0, 5, v12
	v_cmp_eq_u32_e64 s1, 3, v12
	v_lshrrev_b32_e32 v12, 8, v5
	v_and_b32_e32 v16, 0xffff, v16
	v_and_or_b32 v21, 0xffe, v13, v0
	v_sub_nc_u32_e32 v0, 0x3f1, v19
	v_lshrrev_b32_e32 v13, 2, v14
	v_and_or_b32 v4, 0xffe, v12, v4
	v_sub_nc_u32_e32 v12, 0x3f1, v22
	v_or_b32_e32 v14, 0x1000, v21
	v_med3_i32 v0, v0, 0, 13
	s_or_b32 s0, s1, s0
	v_or_b32_e32 v24, 0x1000, v4
	s_wait_alu 0xfffe
	v_add_co_ci_u32_e64 v13, s0, 0, v13, s0
	v_lshrrev_b32_e32 v23, v0, v14
	v_med3_i32 v25, v12, 0, 13
	v_cmp_gt_i32_e64 s0, 31, v20
	v_add_nc_u32_e32 v19, 0xfffffc10, v19
	v_add_nc_u32_e32 v22, 0xfffffc10, v22
	v_lshlrev_b32_e32 v0, v0, v23
	v_lshrrev_b32_e32 v27, v25, v24
	s_wait_alu 0xf1ff
	v_cndmask_b32_e64 v26, 0x7c00, v13, s0
	v_cmp_ne_u32_e64 s0, 0, v6
	v_mad_co_u64_u32 v[12:13], null, s4, v55, 0
	v_lshlrev_b32_e32 v25, v25, v27
	v_lshl_or_b32 v28, v19, 12, v21
	s_wait_alu 0xf1ff
	v_cndmask_b32_e64 v6, 0, 1, s0
	v_cmp_ne_u32_e64 s0, v0, v14
	v_mov_b32_e32 v0, v13
	s_delay_alu instid0(VALU_DEP_3) | instskip(SKIP_1) | instid1(VALU_DEP_3)
	v_lshl_or_b32 v6, v6, 9, 0x7c00
	s_wait_alu 0xf1ff
	v_cndmask_b32_e64 v14, 0, 1, s0
	v_cmp_ne_u32_e64 s0, v25, v24
	s_delay_alu instid0(VALU_DEP_2) | instskip(SKIP_1) | instid1(VALU_DEP_2)
	v_or_b32_e32 v23, v23, v14
	s_wait_alu 0xf1ff
	v_cndmask_b32_e64 v24, 0, 1, s0
	v_cmp_gt_i32_e64 s0, 1, v19
	v_mad_co_u64_u32 v[13:14], null, s5, v55, v[0:1]
	v_lshrrev_b32_e32 v1, 16, v1
	s_delay_alu instid0(VALU_DEP_4) | instskip(SKIP_4) | instid1(VALU_DEP_3)
	v_or_b32_e32 v14, v27, v24
	s_wait_alu 0xf1ff
	v_cndmask_b32_e64 v0, v28, v23, s0
	v_cmp_eq_u32_e64 s0, 0x40f, v20
	v_lshl_or_b32 v23, v22, 12, v4
	v_and_b32_e32 v20, 7, v0
	s_wait_alu 0xf1ff
	s_delay_alu instid0(VALU_DEP_3) | instskip(SKIP_3) | instid1(VALU_DEP_4)
	v_cndmask_b32_e64 v6, v26, v6, s0
	v_cmp_gt_i32_e64 s0, 1, v22
	v_lshrrev_b32_e32 v0, 2, v0
	v_cmp_eq_u32_e64 s1, 3, v20
	v_and_or_b32 v6, 0x8000, v7, v6
	s_wait_alu 0xf1ff
	v_cndmask_b32_e64 v14, v23, v14, s0
	v_cmp_lt_i32_e64 s0, 5, v20
	s_delay_alu instid0(VALU_DEP_3) | instskip(NEXT) | instid1(VALU_DEP_3)
	v_lshl_or_b32 v6, v6, 16, v16
	v_and_b32_e32 v7, 7, v14
	s_delay_alu instid0(VALU_DEP_3) | instskip(SKIP_2) | instid1(VALU_DEP_2)
	s_or_b32 s0, s1, s0
	s_wait_alu 0xfffe
	v_add_co_ci_u32_e64 v0, s0, 0, v0, s0
	v_cmp_lt_i32_e64 s2, 5, v7
	v_cmp_eq_u32_e64 s3, 3, v7
	v_cmp_ne_u32_e64 s0, 0, v21
	v_lshrrev_b32_e32 v7, 2, v14
	s_wait_alu 0xf1ff
	s_delay_alu instid0(VALU_DEP_2)
	v_cndmask_b32_e64 v14, 0, 1, s0
	s_or_b32 s0, s3, s2
	s_wait_alu 0xfffe
	v_add_co_ci_u32_e64 v7, s0, 0, v7, s0
	v_cmp_ne_u32_e64 s0, 0, v4
	v_lshl_or_b32 v14, v14, 9, 0x7c00
	s_wait_alu 0xf1ff
	s_delay_alu instid0(VALU_DEP_2) | instskip(SKIP_1) | instid1(VALU_DEP_2)
	v_cndmask_b32_e64 v4, 0, 1, s0
	v_cmp_gt_i32_e64 s0, 31, v19
	v_lshl_or_b32 v4, v4, 9, 0x7c00
	s_wait_alu 0xf1ff
	s_delay_alu instid0(VALU_DEP_2) | instskip(SKIP_2) | instid1(VALU_DEP_1)
	v_cndmask_b32_e64 v0, 0x7c00, v0, s0
	v_cmp_gt_i32_e64 s0, 31, v22
	s_wait_alu 0xf1ff
	v_cndmask_b32_e64 v7, 0x7c00, v7, s0
	v_cmp_eq_u32_e64 s0, 0x40f, v19
	s_wait_alu 0xf1ff
	s_delay_alu instid0(VALU_DEP_1) | instskip(SKIP_2) | instid1(VALU_DEP_3)
	v_cndmask_b32_e64 v0, v0, v14, s0
	v_cmp_eq_u32_e64 s0, 0x40f, v22
	v_lshrrev_b32_e32 v14, 16, v5
	v_and_or_b32 v16, 0x8000, v1, v0
	v_mad_co_u64_u32 v[0:1], null, 0x500, s4, v[10:11]
	s_wait_alu 0xf1ff
	v_cndmask_b32_e64 v7, v7, v4, s0
	v_lshlrev_b64_e32 v[4:5], 2, v[12:13]
	v_and_b32_e32 v12, 0xffff, v16
	s_delay_alu instid0(VALU_DEP_3) | instskip(SKIP_1) | instid1(VALU_DEP_4)
	v_and_or_b32 v7, 0x8000, v14, v7
	v_add_nc_u32_e32 v1, s10, v1
	v_add_co_u32 v2, s0, v2, v4
	s_wait_alu 0xf1ff
	v_add_co_ci_u32_e64 v3, s0, v3, v5, s0
	v_lshl_or_b32 v4, v7, 16, v12
	global_store_b32 v[8:9], v18, off
	global_store_b32 v[10:11], v15, off
	global_store_b32 v[2:3], v6, off
	global_store_b32 v[0:1], v4, off
	s_and_b32 exec_lo, exec_lo, vcc_lo
	s_cbranch_execz .LBB0_23
; %bb.22:
	global_load_b32 v4, v[31:32], off offset:400
	v_add_nc_u32_e32 v2, 0x100, v54
	v_mad_co_u64_u32 v[0:1], null, 0xffffeb10, s4, v[0:1]
	ds_load_2addr_b32 v[2:3], v2 offset0:36 offset1:196
	s_wait_dscnt 0x0
	v_lshrrev_b32_e32 v5, 16, v2
	s_wait_loadcnt 0x0
	v_lshrrev_b32_e32 v6, 16, v4
	s_delay_alu instid0(VALU_DEP_1) | instskip(SKIP_1) | instid1(VALU_DEP_2)
	v_mul_f16_e32 v7, v5, v6
	v_mul_f16_e32 v6, v2, v6
	v_fmac_f16_e32 v7, v2, v4
	s_delay_alu instid0(VALU_DEP_2) | instskip(NEXT) | instid1(VALU_DEP_2)
	v_fma_f16 v2, v4, v5, -v6
	v_cvt_f32_f16_e32 v4, v7
	s_delay_alu instid0(VALU_DEP_2) | instskip(NEXT) | instid1(VALU_DEP_2)
	v_cvt_f32_f16_e32 v2, v2
	v_cvt_f64_f32_e32 v[4:5], v4
	s_delay_alu instid0(VALU_DEP_2) | instskip(NEXT) | instid1(VALU_DEP_2)
	v_cvt_f64_f32_e32 v[6:7], v2
	v_mul_f64_e32 v[4:5], s[8:9], v[4:5]
	s_delay_alu instid0(VALU_DEP_2) | instskip(NEXT) | instid1(VALU_DEP_2)
	v_mul_f64_e32 v[6:7], s[8:9], v[6:7]
	v_and_or_b32 v2, 0x1ff, v5, v4
	s_delay_alu instid0(VALU_DEP_2)
	v_and_or_b32 v6, 0x1ff, v7, v6
	v_lshrrev_b32_e32 v4, 8, v5
	v_bfe_u32 v8, v5, 20, 11
	v_lshrrev_b32_e32 v9, 8, v7
	v_cmp_ne_u32_e32 vcc_lo, 0, v2
	v_bfe_u32 v10, v7, 20, 11
	v_lshrrev_b32_e32 v5, 16, v5
	v_sub_nc_u32_e32 v11, 0x3f1, v8
	v_add_nc_u32_e32 v8, 0xfffffc10, v8
	s_wait_alu 0xfffd
	v_cndmask_b32_e64 v2, 0, 1, vcc_lo
	v_cmp_ne_u32_e32 vcc_lo, 0, v6
	v_lshrrev_b32_e32 v7, 16, v7
	s_delay_alu instid0(VALU_DEP_3) | instskip(SKIP_4) | instid1(VALU_DEP_3)
	v_and_or_b32 v2, 0xffe, v4, v2
	s_wait_alu 0xfffd
	v_cndmask_b32_e64 v6, 0, 1, vcc_lo
	v_sub_nc_u32_e32 v4, 0x3f1, v10
	v_add_nc_u32_e32 v10, 0xfffffc10, v10
	v_and_or_b32 v6, 0xffe, v9, v6
	v_med3_i32 v9, v11, 0, 13
	v_or_b32_e32 v11, 0x1000, v2
	v_med3_i32 v4, v4, 0, 13
	s_delay_alu instid0(VALU_DEP_4) | instskip(NEXT) | instid1(VALU_DEP_3)
	v_or_b32_e32 v12, 0x1000, v6
	v_lshrrev_b32_e32 v13, v9, v11
	s_delay_alu instid0(VALU_DEP_2) | instskip(NEXT) | instid1(VALU_DEP_2)
	v_lshrrev_b32_e32 v14, v4, v12
	v_lshlrev_b32_e32 v9, v9, v13
	s_delay_alu instid0(VALU_DEP_2) | instskip(NEXT) | instid1(VALU_DEP_2)
	v_lshlrev_b32_e32 v4, v4, v14
	v_cmp_ne_u32_e32 vcc_lo, v9, v11
	v_lshl_or_b32 v11, v8, 12, v2
	s_wait_alu 0xfffd
	v_cndmask_b32_e64 v9, 0, 1, vcc_lo
	v_cmp_ne_u32_e32 vcc_lo, v4, v12
	v_lshl_or_b32 v12, v10, 12, v6
	s_delay_alu instid0(VALU_DEP_3) | instskip(SKIP_3) | instid1(VALU_DEP_2)
	v_or_b32_e32 v9, v13, v9
	s_wait_alu 0xfffd
	v_cndmask_b32_e64 v4, 0, 1, vcc_lo
	v_cmp_gt_i32_e32 vcc_lo, 1, v8
	v_or_b32_e32 v4, v14, v4
	s_wait_alu 0xfffd
	v_cndmask_b32_e32 v9, v11, v9, vcc_lo
	v_cmp_gt_i32_e32 vcc_lo, 1, v10
	s_wait_alu 0xfffd
	s_delay_alu instid0(VALU_DEP_2) | instskip(SKIP_2) | instid1(VALU_DEP_3)
	v_dual_cndmask_b32 v4, v12, v4 :: v_dual_and_b32 v11, 7, v9
	v_cmp_ne_u32_e32 vcc_lo, 0, v2
	v_lshrrev_b32_e32 v9, 2, v9
	v_cmp_eq_u32_e64 s0, 3, v11
	s_delay_alu instid0(VALU_DEP_4)
	v_and_b32_e32 v12, 7, v4
	s_wait_alu 0xfffd
	v_cndmask_b32_e64 v2, 0, 1, vcc_lo
	v_cmp_ne_u32_e32 vcc_lo, 0, v6
	v_lshrrev_b32_e32 v4, 2, v4
	v_cmp_lt_i32_e64 s1, 5, v12
	v_cmp_eq_u32_e64 s2, 3, v12
	s_wait_alu 0xfffd
	v_cndmask_b32_e64 v6, 0, 1, vcc_lo
	v_cmp_lt_i32_e32 vcc_lo, 5, v11
	v_lshl_or_b32 v2, v2, 9, 0x7c00
	s_delay_alu instid0(VALU_DEP_3)
	v_lshl_or_b32 v6, v6, 9, 0x7c00
	s_or_b32 vcc_lo, s0, vcc_lo
	s_mul_i32 s0, s5, 0xffffeb10
	s_wait_alu 0xfffe
	v_add_co_ci_u32_e32 v9, vcc_lo, 0, v9, vcc_lo
	s_or_b32 vcc_lo, s2, s1
	s_sub_co_i32 s0, s0, s4
	s_wait_alu 0xfffe
	v_add_co_ci_u32_e32 v4, vcc_lo, 0, v4, vcc_lo
	v_cmp_gt_i32_e32 vcc_lo, 31, v8
	v_add_nc_u32_e32 v1, s0, v1
	s_wait_alu 0xfffd
	v_cndmask_b32_e32 v9, 0x7c00, v9, vcc_lo
	v_cmp_gt_i32_e32 vcc_lo, 31, v10
	s_wait_alu 0xfffd
	v_cndmask_b32_e32 v4, 0x7c00, v4, vcc_lo
	v_cmp_eq_u32_e32 vcc_lo, 0x40f, v8
	s_wait_alu 0xfffd
	v_cndmask_b32_e32 v2, v9, v2, vcc_lo
	v_cmp_eq_u32_e32 vcc_lo, 0x40f, v10
	s_delay_alu instid0(VALU_DEP_2) | instskip(SKIP_2) | instid1(VALU_DEP_2)
	v_and_or_b32 v2, 0x8000, v5, v2
	s_wait_alu 0xfffd
	v_cndmask_b32_e32 v4, v4, v6, vcc_lo
	v_and_b32_e32 v2, 0xffff, v2
	s_delay_alu instid0(VALU_DEP_2) | instskip(NEXT) | instid1(VALU_DEP_1)
	v_and_or_b32 v4, 0x8000, v7, v4
	v_lshl_or_b32 v2, v4, 16, v2
	v_lshrrev_b32_e32 v4, 16, v3
	global_store_b32 v[0:1], v2, off
	global_load_b32 v2, v[31:32], off offset:1040
	s_wait_loadcnt 0x0
	v_lshrrev_b32_e32 v5, 16, v2
	s_delay_alu instid0(VALU_DEP_1) | instskip(SKIP_1) | instid1(VALU_DEP_2)
	v_mul_f16_e32 v6, v4, v5
	v_mul_f16_e32 v5, v3, v5
	v_fmac_f16_e32 v6, v3, v2
	s_delay_alu instid0(VALU_DEP_2) | instskip(NEXT) | instid1(VALU_DEP_2)
	v_fma_f16 v2, v2, v4, -v5
	v_cvt_f32_f16_e32 v3, v6
	s_delay_alu instid0(VALU_DEP_2) | instskip(NEXT) | instid1(VALU_DEP_2)
	v_cvt_f32_f16_e32 v4, v2
	v_cvt_f64_f32_e32 v[2:3], v3
	s_delay_alu instid0(VALU_DEP_2) | instskip(NEXT) | instid1(VALU_DEP_2)
	v_cvt_f64_f32_e32 v[4:5], v4
	v_mul_f64_e32 v[2:3], s[8:9], v[2:3]
	s_delay_alu instid0(VALU_DEP_2) | instskip(NEXT) | instid1(VALU_DEP_2)
	v_mul_f64_e32 v[4:5], s[8:9], v[4:5]
	v_and_or_b32 v2, 0x1ff, v3, v2
	s_delay_alu instid0(VALU_DEP_2)
	v_and_or_b32 v4, 0x1ff, v5, v4
	v_lshrrev_b32_e32 v6, 8, v3
	v_bfe_u32 v7, v3, 20, 11
	v_lshrrev_b32_e32 v8, 8, v5
	v_cmp_ne_u32_e32 vcc_lo, 0, v2
	v_bfe_u32 v9, v5, 20, 11
	v_lshrrev_b32_e32 v3, 16, v3
	v_sub_nc_u32_e32 v10, 0x3f1, v7
	v_add_nc_u32_e32 v7, 0xfffffc10, v7
	s_wait_alu 0xfffd
	v_cndmask_b32_e64 v2, 0, 1, vcc_lo
	v_cmp_ne_u32_e32 vcc_lo, 0, v4
	v_lshrrev_b32_e32 v5, 16, v5
	s_delay_alu instid0(VALU_DEP_3) | instskip(SKIP_3) | instid1(VALU_DEP_2)
	v_and_or_b32 v2, 0xffe, v6, v2
	s_wait_alu 0xfffd
	v_cndmask_b32_e64 v4, 0, 1, vcc_lo
	v_sub_nc_u32_e32 v6, 0x3f1, v9
	v_and_or_b32 v4, 0xffe, v8, v4
	v_med3_i32 v8, v10, 0, 13
	v_or_b32_e32 v10, 0x1000, v2
	s_delay_alu instid0(VALU_DEP_4) | instskip(NEXT) | instid1(VALU_DEP_4)
	v_med3_i32 v6, v6, 0, 13
	v_or_b32_e32 v11, 0x1000, v4
	s_delay_alu instid0(VALU_DEP_3) | instskip(NEXT) | instid1(VALU_DEP_2)
	v_lshrrev_b32_e32 v12, v8, v10
	v_lshrrev_b32_e32 v13, v6, v11
	s_delay_alu instid0(VALU_DEP_2) | instskip(NEXT) | instid1(VALU_DEP_2)
	v_lshlrev_b32_e32 v8, v8, v12
	v_lshlrev_b32_e32 v6, v6, v13
	s_delay_alu instid0(VALU_DEP_2) | instskip(SKIP_4) | instid1(VALU_DEP_2)
	v_cmp_ne_u32_e32 vcc_lo, v8, v10
	v_lshl_or_b32 v10, v7, 12, v2
	s_wait_alu 0xfffd
	v_cndmask_b32_e64 v8, 0, 1, vcc_lo
	v_cmp_ne_u32_e32 vcc_lo, v6, v11
	v_or_b32_e32 v8, v12, v8
	s_wait_alu 0xfffd
	v_cndmask_b32_e64 v6, 0, 1, vcc_lo
	v_cmp_gt_i32_e32 vcc_lo, 1, v7
	v_add_nc_u32_e32 v9, 0xfffffc10, v9
	s_delay_alu instid0(VALU_DEP_3) | instskip(SKIP_2) | instid1(VALU_DEP_3)
	v_or_b32_e32 v6, v13, v6
	s_wait_alu 0xfffd
	v_cndmask_b32_e32 v8, v10, v8, vcc_lo
	v_lshl_or_b32 v11, v9, 12, v4
	v_cmp_gt_i32_e32 vcc_lo, 1, v9
	s_delay_alu instid0(VALU_DEP_3)
	v_and_b32_e32 v10, 7, v8
	v_lshrrev_b32_e32 v8, 2, v8
	s_wait_alu 0xfffd
	v_cndmask_b32_e32 v6, v11, v6, vcc_lo
	v_cmp_ne_u32_e32 vcc_lo, 0, v2
	v_cmp_eq_u32_e64 s0, 3, v10
	s_wait_alu 0xfffd
	v_cndmask_b32_e64 v2, 0, 1, vcc_lo
	v_cmp_ne_u32_e32 vcc_lo, 0, v4
	s_delay_alu instid0(VALU_DEP_2) | instskip(SKIP_3) | instid1(VALU_DEP_2)
	v_lshl_or_b32 v2, v2, 9, 0x7c00
	s_wait_alu 0xfffd
	v_cndmask_b32_e64 v4, 0, 1, vcc_lo
	v_cmp_lt_i32_e32 vcc_lo, 5, v10
	v_lshl_or_b32 v4, v4, 9, 0x7c00
	s_or_b32 vcc_lo, s0, vcc_lo
	s_wait_alu 0xfffe
	v_add_co_ci_u32_e32 v8, vcc_lo, 0, v8, vcc_lo
	v_and_b32_e32 v11, 7, v6
	v_lshrrev_b32_e32 v6, 2, v6
	s_delay_alu instid0(VALU_DEP_2) | instskip(SKIP_1) | instid1(VALU_DEP_1)
	v_cmp_lt_i32_e64 s1, 5, v11
	v_cmp_eq_u32_e64 s2, 3, v11
	s_or_b32 vcc_lo, s2, s1
	s_wait_alu 0xfffe
	v_add_co_ci_u32_e32 v6, vcc_lo, 0, v6, vcc_lo
	v_cmp_gt_i32_e32 vcc_lo, 31, v7
	s_wait_alu 0xfffd
	v_cndmask_b32_e32 v8, 0x7c00, v8, vcc_lo
	v_cmp_gt_i32_e32 vcc_lo, 31, v9
	s_wait_alu 0xfffd
	v_cndmask_b32_e32 v6, 0x7c00, v6, vcc_lo
	v_cmp_eq_u32_e32 vcc_lo, 0x40f, v7
	s_wait_alu 0xfffd
	v_cndmask_b32_e32 v2, v8, v2, vcc_lo
	v_cmp_eq_u32_e32 vcc_lo, 0x40f, v9
	s_delay_alu instid0(VALU_DEP_2)
	v_and_or_b32 v2, 0x8000, v3, v2
	s_wait_alu 0xfffd
	v_cndmask_b32_e32 v4, v6, v4, vcc_lo
	v_add_co_u32 v0, vcc_lo, v0, s6
	s_wait_alu 0xfffd
	v_add_co_ci_u32_e32 v1, vcc_lo, s7, v1, vcc_lo
	s_delay_alu instid0(VALU_DEP_3) | instskip(SKIP_1) | instid1(VALU_DEP_1)
	v_and_or_b32 v3, 0x8000, v5, v4
	v_and_b32_e32 v2, 0xffff, v2
	v_lshl_or_b32 v2, v3, 16, v2
	global_store_b32 v[0:1], v2, off
	global_load_b32 v4, v[31:32], off offset:1680
	v_add_nc_u32_e32 v2, 0x600, v54
	ds_load_2addr_b32 v[2:3], v2 offset0:36 offset1:196
	s_wait_dscnt 0x0
	v_lshrrev_b32_e32 v5, 16, v2
	s_wait_loadcnt 0x0
	v_lshrrev_b32_e32 v6, 16, v4
	s_delay_alu instid0(VALU_DEP_1) | instskip(SKIP_1) | instid1(VALU_DEP_2)
	v_mul_f16_e32 v7, v5, v6
	v_mul_f16_e32 v6, v2, v6
	v_fmac_f16_e32 v7, v2, v4
	s_delay_alu instid0(VALU_DEP_2) | instskip(NEXT) | instid1(VALU_DEP_2)
	v_fma_f16 v2, v4, v5, -v6
	v_cvt_f32_f16_e32 v4, v7
	s_delay_alu instid0(VALU_DEP_2) | instskip(NEXT) | instid1(VALU_DEP_2)
	v_cvt_f32_f16_e32 v2, v2
	v_cvt_f64_f32_e32 v[4:5], v4
	s_delay_alu instid0(VALU_DEP_2) | instskip(NEXT) | instid1(VALU_DEP_2)
	v_cvt_f64_f32_e32 v[6:7], v2
	v_mul_f64_e32 v[4:5], s[8:9], v[4:5]
	s_delay_alu instid0(VALU_DEP_2) | instskip(NEXT) | instid1(VALU_DEP_2)
	v_mul_f64_e32 v[6:7], s[8:9], v[6:7]
	v_and_or_b32 v2, 0x1ff, v5, v4
	s_delay_alu instid0(VALU_DEP_2)
	v_and_or_b32 v6, 0x1ff, v7, v6
	v_lshrrev_b32_e32 v4, 8, v5
	v_bfe_u32 v8, v5, 20, 11
	v_lshrrev_b32_e32 v9, 8, v7
	v_cmp_ne_u32_e32 vcc_lo, 0, v2
	v_bfe_u32 v10, v7, 20, 11
	v_lshrrev_b32_e32 v5, 16, v5
	v_sub_nc_u32_e32 v11, 0x3f1, v8
	v_add_nc_u32_e32 v8, 0xfffffc10, v8
	s_wait_alu 0xfffd
	v_cndmask_b32_e64 v2, 0, 1, vcc_lo
	v_cmp_ne_u32_e32 vcc_lo, 0, v6
	v_lshrrev_b32_e32 v7, 16, v7
	s_delay_alu instid0(VALU_DEP_3) | instskip(SKIP_4) | instid1(VALU_DEP_3)
	v_and_or_b32 v2, 0xffe, v4, v2
	s_wait_alu 0xfffd
	v_cndmask_b32_e64 v6, 0, 1, vcc_lo
	v_sub_nc_u32_e32 v4, 0x3f1, v10
	v_add_nc_u32_e32 v10, 0xfffffc10, v10
	v_and_or_b32 v6, 0xffe, v9, v6
	v_med3_i32 v9, v11, 0, 13
	v_or_b32_e32 v11, 0x1000, v2
	v_med3_i32 v4, v4, 0, 13
	s_delay_alu instid0(VALU_DEP_4) | instskip(NEXT) | instid1(VALU_DEP_3)
	v_or_b32_e32 v12, 0x1000, v6
	v_lshrrev_b32_e32 v13, v9, v11
	s_delay_alu instid0(VALU_DEP_2) | instskip(NEXT) | instid1(VALU_DEP_2)
	v_lshrrev_b32_e32 v14, v4, v12
	v_lshlrev_b32_e32 v9, v9, v13
	s_delay_alu instid0(VALU_DEP_2) | instskip(NEXT) | instid1(VALU_DEP_2)
	v_lshlrev_b32_e32 v4, v4, v14
	v_cmp_ne_u32_e32 vcc_lo, v9, v11
	v_lshl_or_b32 v11, v8, 12, v2
	s_wait_alu 0xfffd
	v_cndmask_b32_e64 v9, 0, 1, vcc_lo
	v_cmp_ne_u32_e32 vcc_lo, v4, v12
	v_lshl_or_b32 v12, v10, 12, v6
	s_delay_alu instid0(VALU_DEP_3) | instskip(SKIP_3) | instid1(VALU_DEP_2)
	v_or_b32_e32 v9, v13, v9
	s_wait_alu 0xfffd
	v_cndmask_b32_e64 v4, 0, 1, vcc_lo
	v_cmp_gt_i32_e32 vcc_lo, 1, v8
	v_or_b32_e32 v4, v14, v4
	s_wait_alu 0xfffd
	v_cndmask_b32_e32 v9, v11, v9, vcc_lo
	v_cmp_gt_i32_e32 vcc_lo, 1, v10
	s_wait_alu 0xfffd
	s_delay_alu instid0(VALU_DEP_2) | instskip(SKIP_2) | instid1(VALU_DEP_3)
	v_dual_cndmask_b32 v4, v12, v4 :: v_dual_and_b32 v11, 7, v9
	v_cmp_ne_u32_e32 vcc_lo, 0, v2
	v_lshrrev_b32_e32 v9, 2, v9
	v_cmp_eq_u32_e64 s0, 3, v11
	s_delay_alu instid0(VALU_DEP_4)
	v_and_b32_e32 v12, 7, v4
	s_wait_alu 0xfffd
	v_cndmask_b32_e64 v2, 0, 1, vcc_lo
	v_cmp_ne_u32_e32 vcc_lo, 0, v6
	v_lshrrev_b32_e32 v4, 2, v4
	v_cmp_lt_i32_e64 s1, 5, v12
	v_cmp_eq_u32_e64 s2, 3, v12
	s_wait_alu 0xfffd
	v_cndmask_b32_e64 v6, 0, 1, vcc_lo
	v_cmp_lt_i32_e32 vcc_lo, 5, v11
	v_lshl_or_b32 v2, v2, 9, 0x7c00
	s_delay_alu instid0(VALU_DEP_3)
	v_lshl_or_b32 v6, v6, 9, 0x7c00
	s_or_b32 vcc_lo, s0, vcc_lo
	s_wait_alu 0xfffe
	v_add_co_ci_u32_e32 v9, vcc_lo, 0, v9, vcc_lo
	s_or_b32 vcc_lo, s2, s1
	s_wait_alu 0xfffe
	v_add_co_ci_u32_e32 v4, vcc_lo, 0, v4, vcc_lo
	v_cmp_gt_i32_e32 vcc_lo, 31, v8
	s_wait_alu 0xfffd
	v_cndmask_b32_e32 v9, 0x7c00, v9, vcc_lo
	v_cmp_gt_i32_e32 vcc_lo, 31, v10
	s_wait_alu 0xfffd
	v_cndmask_b32_e32 v4, 0x7c00, v4, vcc_lo
	v_cmp_eq_u32_e32 vcc_lo, 0x40f, v8
	s_wait_alu 0xfffd
	v_cndmask_b32_e32 v2, v9, v2, vcc_lo
	v_cmp_eq_u32_e32 vcc_lo, 0x40f, v10
	s_delay_alu instid0(VALU_DEP_2)
	v_and_or_b32 v2, 0x8000, v5, v2
	s_wait_alu 0xfffd
	v_cndmask_b32_e32 v4, v4, v6, vcc_lo
	v_add_co_u32 v0, vcc_lo, v0, s6
	s_wait_alu 0xfffd
	v_add_co_ci_u32_e32 v1, vcc_lo, s7, v1, vcc_lo
	s_delay_alu instid0(VALU_DEP_3) | instskip(SKIP_1) | instid1(VALU_DEP_1)
	v_and_or_b32 v4, 0x8000, v7, v4
	v_and_b32_e32 v2, 0xffff, v2
	v_lshl_or_b32 v2, v4, 16, v2
	v_lshrrev_b32_e32 v4, 16, v3
	global_store_b32 v[0:1], v2, off
	global_load_b32 v2, v[31:32], off offset:2320
	s_wait_loadcnt 0x0
	v_lshrrev_b32_e32 v5, 16, v2
	s_delay_alu instid0(VALU_DEP_1) | instskip(SKIP_1) | instid1(VALU_DEP_2)
	v_mul_f16_e32 v6, v4, v5
	v_mul_f16_e32 v5, v3, v5
	v_fmac_f16_e32 v6, v3, v2
	s_delay_alu instid0(VALU_DEP_2) | instskip(NEXT) | instid1(VALU_DEP_2)
	v_fma_f16 v2, v2, v4, -v5
	v_cvt_f32_f16_e32 v3, v6
	s_delay_alu instid0(VALU_DEP_2) | instskip(NEXT) | instid1(VALU_DEP_2)
	v_cvt_f32_f16_e32 v4, v2
	v_cvt_f64_f32_e32 v[2:3], v3
	s_delay_alu instid0(VALU_DEP_2) | instskip(NEXT) | instid1(VALU_DEP_2)
	v_cvt_f64_f32_e32 v[4:5], v4
	v_mul_f64_e32 v[2:3], s[8:9], v[2:3]
	s_delay_alu instid0(VALU_DEP_2) | instskip(NEXT) | instid1(VALU_DEP_2)
	v_mul_f64_e32 v[4:5], s[8:9], v[4:5]
	v_and_or_b32 v2, 0x1ff, v3, v2
	s_delay_alu instid0(VALU_DEP_2)
	v_and_or_b32 v4, 0x1ff, v5, v4
	v_lshrrev_b32_e32 v6, 8, v3
	v_bfe_u32 v7, v3, 20, 11
	v_lshrrev_b32_e32 v8, 8, v5
	v_cmp_ne_u32_e32 vcc_lo, 0, v2
	v_bfe_u32 v9, v5, 20, 11
	v_lshrrev_b32_e32 v3, 16, v3
	v_sub_nc_u32_e32 v10, 0x3f1, v7
	v_add_nc_u32_e32 v7, 0xfffffc10, v7
	s_wait_alu 0xfffd
	v_cndmask_b32_e64 v2, 0, 1, vcc_lo
	v_cmp_ne_u32_e32 vcc_lo, 0, v4
	v_lshrrev_b32_e32 v5, 16, v5
	s_delay_alu instid0(VALU_DEP_3) | instskip(SKIP_4) | instid1(VALU_DEP_3)
	v_and_or_b32 v2, 0xffe, v6, v2
	s_wait_alu 0xfffd
	v_cndmask_b32_e64 v4, 0, 1, vcc_lo
	v_sub_nc_u32_e32 v6, 0x3f1, v9
	v_add_nc_u32_e32 v9, 0xfffffc10, v9
	v_and_or_b32 v4, 0xffe, v8, v4
	v_med3_i32 v8, v10, 0, 13
	v_or_b32_e32 v10, 0x1000, v2
	v_med3_i32 v6, v6, 0, 13
	s_delay_alu instid0(VALU_DEP_4) | instskip(NEXT) | instid1(VALU_DEP_3)
	v_or_b32_e32 v11, 0x1000, v4
	v_lshrrev_b32_e32 v12, v8, v10
	s_delay_alu instid0(VALU_DEP_2) | instskip(NEXT) | instid1(VALU_DEP_2)
	v_lshrrev_b32_e32 v13, v6, v11
	v_lshlrev_b32_e32 v8, v8, v12
	s_delay_alu instid0(VALU_DEP_2) | instskip(NEXT) | instid1(VALU_DEP_2)
	v_lshlrev_b32_e32 v6, v6, v13
	v_cmp_ne_u32_e32 vcc_lo, v8, v10
	v_lshl_or_b32 v10, v7, 12, v2
	s_wait_alu 0xfffd
	v_cndmask_b32_e64 v8, 0, 1, vcc_lo
	v_cmp_ne_u32_e32 vcc_lo, v6, v11
	v_lshl_or_b32 v11, v9, 12, v4
	s_delay_alu instid0(VALU_DEP_3) | instskip(SKIP_3) | instid1(VALU_DEP_2)
	v_or_b32_e32 v8, v12, v8
	s_wait_alu 0xfffd
	v_cndmask_b32_e64 v6, 0, 1, vcc_lo
	v_cmp_gt_i32_e32 vcc_lo, 1, v7
	v_or_b32_e32 v6, v13, v6
	s_wait_alu 0xfffd
	v_cndmask_b32_e32 v8, v10, v8, vcc_lo
	v_cmp_gt_i32_e32 vcc_lo, 1, v9
	s_delay_alu instid0(VALU_DEP_2)
	v_and_b32_e32 v10, 7, v8
	s_wait_alu 0xfffd
	v_cndmask_b32_e32 v6, v11, v6, vcc_lo
	v_cmp_ne_u32_e32 vcc_lo, 0, v2
	v_lshrrev_b32_e32 v8, 2, v8
	v_cmp_eq_u32_e64 s0, 3, v10
	s_delay_alu instid0(VALU_DEP_4)
	v_and_b32_e32 v11, 7, v6
	s_wait_alu 0xfffd
	v_cndmask_b32_e64 v2, 0, 1, vcc_lo
	v_cmp_ne_u32_e32 vcc_lo, 0, v4
	v_lshrrev_b32_e32 v6, 2, v6
	v_cmp_lt_i32_e64 s1, 5, v11
	v_cmp_eq_u32_e64 s2, 3, v11
	s_wait_alu 0xfffd
	v_cndmask_b32_e64 v4, 0, 1, vcc_lo
	v_cmp_lt_i32_e32 vcc_lo, 5, v10
	v_lshl_or_b32 v2, v2, 9, 0x7c00
	s_delay_alu instid0(VALU_DEP_3)
	v_lshl_or_b32 v4, v4, 9, 0x7c00
	s_or_b32 vcc_lo, s0, vcc_lo
	s_wait_alu 0xfffe
	v_add_co_ci_u32_e32 v8, vcc_lo, 0, v8, vcc_lo
	s_or_b32 vcc_lo, s2, s1
	s_wait_alu 0xfffe
	v_add_co_ci_u32_e32 v6, vcc_lo, 0, v6, vcc_lo
	v_cmp_gt_i32_e32 vcc_lo, 31, v7
	s_wait_alu 0xfffd
	v_cndmask_b32_e32 v8, 0x7c00, v8, vcc_lo
	v_cmp_gt_i32_e32 vcc_lo, 31, v9
	s_wait_alu 0xfffd
	v_cndmask_b32_e32 v6, 0x7c00, v6, vcc_lo
	v_cmp_eq_u32_e32 vcc_lo, 0x40f, v7
	s_wait_alu 0xfffd
	v_cndmask_b32_e32 v2, v8, v2, vcc_lo
	v_cmp_eq_u32_e32 vcc_lo, 0x40f, v9
	s_delay_alu instid0(VALU_DEP_2)
	v_and_or_b32 v2, 0x8000, v3, v2
	s_wait_alu 0xfffd
	v_cndmask_b32_e32 v4, v6, v4, vcc_lo
	v_add_co_u32 v0, vcc_lo, v0, s6
	s_wait_alu 0xfffd
	v_add_co_ci_u32_e32 v1, vcc_lo, s7, v1, vcc_lo
	s_delay_alu instid0(VALU_DEP_3) | instskip(SKIP_1) | instid1(VALU_DEP_1)
	v_and_or_b32 v3, 0x8000, v5, v4
	v_and_b32_e32 v2, 0xffff, v2
	v_lshl_or_b32 v2, v3, 16, v2
	global_store_b32 v[0:1], v2, off
	global_load_b32 v4, v[31:32], off offset:2960
	v_add_nc_u32_e32 v2, 0xb00, v54
	ds_load_2addr_b32 v[2:3], v2 offset0:36 offset1:196
	s_wait_dscnt 0x0
	v_lshrrev_b32_e32 v5, 16, v2
	s_wait_loadcnt 0x0
	v_lshrrev_b32_e32 v6, 16, v4
	s_delay_alu instid0(VALU_DEP_1) | instskip(SKIP_1) | instid1(VALU_DEP_2)
	v_mul_f16_e32 v7, v5, v6
	v_mul_f16_e32 v6, v2, v6
	v_fmac_f16_e32 v7, v2, v4
	s_delay_alu instid0(VALU_DEP_2) | instskip(NEXT) | instid1(VALU_DEP_2)
	v_fma_f16 v2, v4, v5, -v6
	v_cvt_f32_f16_e32 v4, v7
	s_delay_alu instid0(VALU_DEP_2) | instskip(NEXT) | instid1(VALU_DEP_2)
	v_cvt_f32_f16_e32 v2, v2
	v_cvt_f64_f32_e32 v[4:5], v4
	s_delay_alu instid0(VALU_DEP_2) | instskip(NEXT) | instid1(VALU_DEP_2)
	v_cvt_f64_f32_e32 v[6:7], v2
	v_mul_f64_e32 v[4:5], s[8:9], v[4:5]
	s_delay_alu instid0(VALU_DEP_2) | instskip(NEXT) | instid1(VALU_DEP_2)
	v_mul_f64_e32 v[6:7], s[8:9], v[6:7]
	v_and_or_b32 v2, 0x1ff, v5, v4
	s_delay_alu instid0(VALU_DEP_2)
	v_and_or_b32 v6, 0x1ff, v7, v6
	v_lshrrev_b32_e32 v4, 8, v5
	v_bfe_u32 v8, v5, 20, 11
	v_lshrrev_b32_e32 v9, 8, v7
	v_cmp_ne_u32_e32 vcc_lo, 0, v2
	v_bfe_u32 v10, v7, 20, 11
	v_lshrrev_b32_e32 v5, 16, v5
	v_sub_nc_u32_e32 v11, 0x3f1, v8
	v_add_nc_u32_e32 v8, 0xfffffc10, v8
	s_wait_alu 0xfffd
	v_cndmask_b32_e64 v2, 0, 1, vcc_lo
	v_cmp_ne_u32_e32 vcc_lo, 0, v6
	v_lshrrev_b32_e32 v7, 16, v7
	s_delay_alu instid0(VALU_DEP_3) | instskip(SKIP_4) | instid1(VALU_DEP_3)
	v_and_or_b32 v2, 0xffe, v4, v2
	s_wait_alu 0xfffd
	v_cndmask_b32_e64 v6, 0, 1, vcc_lo
	v_sub_nc_u32_e32 v4, 0x3f1, v10
	v_add_nc_u32_e32 v10, 0xfffffc10, v10
	v_and_or_b32 v6, 0xffe, v9, v6
	v_med3_i32 v9, v11, 0, 13
	v_or_b32_e32 v11, 0x1000, v2
	v_med3_i32 v4, v4, 0, 13
	s_delay_alu instid0(VALU_DEP_4) | instskip(NEXT) | instid1(VALU_DEP_3)
	v_or_b32_e32 v12, 0x1000, v6
	v_lshrrev_b32_e32 v13, v9, v11
	s_delay_alu instid0(VALU_DEP_2) | instskip(NEXT) | instid1(VALU_DEP_2)
	v_lshrrev_b32_e32 v14, v4, v12
	v_lshlrev_b32_e32 v9, v9, v13
	s_delay_alu instid0(VALU_DEP_2) | instskip(NEXT) | instid1(VALU_DEP_2)
	v_lshlrev_b32_e32 v4, v4, v14
	v_cmp_ne_u32_e32 vcc_lo, v9, v11
	v_lshl_or_b32 v11, v8, 12, v2
	s_wait_alu 0xfffd
	v_cndmask_b32_e64 v9, 0, 1, vcc_lo
	v_cmp_ne_u32_e32 vcc_lo, v4, v12
	v_lshl_or_b32 v12, v10, 12, v6
	s_delay_alu instid0(VALU_DEP_3) | instskip(SKIP_3) | instid1(VALU_DEP_2)
	v_or_b32_e32 v9, v13, v9
	s_wait_alu 0xfffd
	v_cndmask_b32_e64 v4, 0, 1, vcc_lo
	v_cmp_gt_i32_e32 vcc_lo, 1, v8
	v_or_b32_e32 v4, v14, v4
	s_wait_alu 0xfffd
	v_cndmask_b32_e32 v9, v11, v9, vcc_lo
	v_cmp_gt_i32_e32 vcc_lo, 1, v10
	s_wait_alu 0xfffd
	s_delay_alu instid0(VALU_DEP_2) | instskip(SKIP_2) | instid1(VALU_DEP_3)
	v_dual_cndmask_b32 v4, v12, v4 :: v_dual_and_b32 v11, 7, v9
	v_cmp_ne_u32_e32 vcc_lo, 0, v2
	v_lshrrev_b32_e32 v9, 2, v9
	v_cmp_eq_u32_e64 s0, 3, v11
	s_delay_alu instid0(VALU_DEP_4)
	v_and_b32_e32 v12, 7, v4
	s_wait_alu 0xfffd
	v_cndmask_b32_e64 v2, 0, 1, vcc_lo
	v_cmp_ne_u32_e32 vcc_lo, 0, v6
	v_lshrrev_b32_e32 v4, 2, v4
	v_cmp_lt_i32_e64 s1, 5, v12
	v_cmp_eq_u32_e64 s2, 3, v12
	s_wait_alu 0xfffd
	v_cndmask_b32_e64 v6, 0, 1, vcc_lo
	v_cmp_lt_i32_e32 vcc_lo, 5, v11
	v_lshl_or_b32 v2, v2, 9, 0x7c00
	s_delay_alu instid0(VALU_DEP_3)
	v_lshl_or_b32 v6, v6, 9, 0x7c00
	s_or_b32 vcc_lo, s0, vcc_lo
	s_wait_alu 0xfffe
	v_add_co_ci_u32_e32 v9, vcc_lo, 0, v9, vcc_lo
	s_or_b32 vcc_lo, s2, s1
	s_wait_alu 0xfffe
	v_add_co_ci_u32_e32 v4, vcc_lo, 0, v4, vcc_lo
	v_cmp_gt_i32_e32 vcc_lo, 31, v8
	s_wait_alu 0xfffd
	v_cndmask_b32_e32 v9, 0x7c00, v9, vcc_lo
	v_cmp_gt_i32_e32 vcc_lo, 31, v10
	s_wait_alu 0xfffd
	v_cndmask_b32_e32 v4, 0x7c00, v4, vcc_lo
	v_cmp_eq_u32_e32 vcc_lo, 0x40f, v8
	s_wait_alu 0xfffd
	v_cndmask_b32_e32 v2, v9, v2, vcc_lo
	v_cmp_eq_u32_e32 vcc_lo, 0x40f, v10
	s_delay_alu instid0(VALU_DEP_2)
	v_and_or_b32 v2, 0x8000, v5, v2
	s_wait_alu 0xfffd
	v_cndmask_b32_e32 v4, v4, v6, vcc_lo
	v_add_co_u32 v0, vcc_lo, v0, s6
	s_wait_alu 0xfffd
	v_add_co_ci_u32_e32 v1, vcc_lo, s7, v1, vcc_lo
	s_delay_alu instid0(VALU_DEP_3) | instskip(SKIP_1) | instid1(VALU_DEP_1)
	v_and_or_b32 v4, 0x8000, v7, v4
	v_and_b32_e32 v2, 0xffff, v2
	v_lshl_or_b32 v2, v4, 16, v2
	v_lshrrev_b32_e32 v4, 16, v3
	global_store_b32 v[0:1], v2, off
	global_load_b32 v2, v[31:32], off offset:3600
	s_wait_loadcnt 0x0
	v_lshrrev_b32_e32 v5, 16, v2
	s_delay_alu instid0(VALU_DEP_1) | instskip(SKIP_1) | instid1(VALU_DEP_2)
	v_mul_f16_e32 v6, v4, v5
	v_mul_f16_e32 v5, v3, v5
	v_fmac_f16_e32 v6, v3, v2
	s_delay_alu instid0(VALU_DEP_2) | instskip(NEXT) | instid1(VALU_DEP_2)
	v_fma_f16 v2, v2, v4, -v5
	v_cvt_f32_f16_e32 v3, v6
	s_delay_alu instid0(VALU_DEP_2) | instskip(NEXT) | instid1(VALU_DEP_2)
	v_cvt_f32_f16_e32 v4, v2
	v_cvt_f64_f32_e32 v[2:3], v3
	s_delay_alu instid0(VALU_DEP_2) | instskip(NEXT) | instid1(VALU_DEP_2)
	v_cvt_f64_f32_e32 v[4:5], v4
	v_mul_f64_e32 v[2:3], s[8:9], v[2:3]
	s_delay_alu instid0(VALU_DEP_2) | instskip(NEXT) | instid1(VALU_DEP_2)
	v_mul_f64_e32 v[4:5], s[8:9], v[4:5]
	v_and_or_b32 v2, 0x1ff, v3, v2
	s_delay_alu instid0(VALU_DEP_2)
	v_and_or_b32 v4, 0x1ff, v5, v4
	v_lshrrev_b32_e32 v6, 8, v3
	v_bfe_u32 v7, v3, 20, 11
	v_lshrrev_b32_e32 v8, 8, v5
	v_cmp_ne_u32_e32 vcc_lo, 0, v2
	v_bfe_u32 v9, v5, 20, 11
	v_lshrrev_b32_e32 v3, 16, v3
	v_sub_nc_u32_e32 v10, 0x3f1, v7
	v_add_nc_u32_e32 v7, 0xfffffc10, v7
	s_wait_alu 0xfffd
	v_cndmask_b32_e64 v2, 0, 1, vcc_lo
	v_cmp_ne_u32_e32 vcc_lo, 0, v4
	v_lshrrev_b32_e32 v5, 16, v5
	s_delay_alu instid0(VALU_DEP_3) | instskip(SKIP_4) | instid1(VALU_DEP_3)
	v_and_or_b32 v2, 0xffe, v6, v2
	s_wait_alu 0xfffd
	v_cndmask_b32_e64 v4, 0, 1, vcc_lo
	v_sub_nc_u32_e32 v6, 0x3f1, v9
	v_add_nc_u32_e32 v9, 0xfffffc10, v9
	v_and_or_b32 v4, 0xffe, v8, v4
	v_med3_i32 v8, v10, 0, 13
	v_or_b32_e32 v10, 0x1000, v2
	v_med3_i32 v6, v6, 0, 13
	s_delay_alu instid0(VALU_DEP_4) | instskip(NEXT) | instid1(VALU_DEP_3)
	v_or_b32_e32 v11, 0x1000, v4
	v_lshrrev_b32_e32 v12, v8, v10
	s_delay_alu instid0(VALU_DEP_2) | instskip(NEXT) | instid1(VALU_DEP_2)
	v_lshrrev_b32_e32 v13, v6, v11
	v_lshlrev_b32_e32 v8, v8, v12
	s_delay_alu instid0(VALU_DEP_2) | instskip(NEXT) | instid1(VALU_DEP_2)
	v_lshlrev_b32_e32 v6, v6, v13
	v_cmp_ne_u32_e32 vcc_lo, v8, v10
	v_lshl_or_b32 v10, v7, 12, v2
	s_wait_alu 0xfffd
	v_cndmask_b32_e64 v8, 0, 1, vcc_lo
	v_cmp_ne_u32_e32 vcc_lo, v6, v11
	v_lshl_or_b32 v11, v9, 12, v4
	s_delay_alu instid0(VALU_DEP_3) | instskip(SKIP_3) | instid1(VALU_DEP_2)
	v_or_b32_e32 v8, v12, v8
	s_wait_alu 0xfffd
	v_cndmask_b32_e64 v6, 0, 1, vcc_lo
	v_cmp_gt_i32_e32 vcc_lo, 1, v7
	v_or_b32_e32 v6, v13, v6
	s_wait_alu 0xfffd
	v_cndmask_b32_e32 v8, v10, v8, vcc_lo
	v_cmp_gt_i32_e32 vcc_lo, 1, v9
	s_delay_alu instid0(VALU_DEP_2)
	v_and_b32_e32 v10, 7, v8
	s_wait_alu 0xfffd
	v_cndmask_b32_e32 v6, v11, v6, vcc_lo
	v_cmp_ne_u32_e32 vcc_lo, 0, v2
	v_lshrrev_b32_e32 v8, 2, v8
	v_cmp_eq_u32_e64 s0, 3, v10
	s_delay_alu instid0(VALU_DEP_4)
	v_and_b32_e32 v11, 7, v6
	s_wait_alu 0xfffd
	v_cndmask_b32_e64 v2, 0, 1, vcc_lo
	v_cmp_ne_u32_e32 vcc_lo, 0, v4
	v_lshrrev_b32_e32 v6, 2, v6
	v_cmp_lt_i32_e64 s1, 5, v11
	v_cmp_eq_u32_e64 s2, 3, v11
	s_wait_alu 0xfffd
	v_cndmask_b32_e64 v4, 0, 1, vcc_lo
	v_cmp_lt_i32_e32 vcc_lo, 5, v10
	v_lshl_or_b32 v2, v2, 9, 0x7c00
	s_delay_alu instid0(VALU_DEP_3)
	v_lshl_or_b32 v4, v4, 9, 0x7c00
	s_or_b32 vcc_lo, s0, vcc_lo
	s_wait_alu 0xfffe
	v_add_co_ci_u32_e32 v8, vcc_lo, 0, v8, vcc_lo
	s_or_b32 vcc_lo, s2, s1
	s_wait_alu 0xfffe
	v_add_co_ci_u32_e32 v6, vcc_lo, 0, v6, vcc_lo
	v_cmp_gt_i32_e32 vcc_lo, 31, v7
	s_wait_alu 0xfffd
	v_cndmask_b32_e32 v8, 0x7c00, v8, vcc_lo
	v_cmp_gt_i32_e32 vcc_lo, 31, v9
	s_wait_alu 0xfffd
	v_cndmask_b32_e32 v6, 0x7c00, v6, vcc_lo
	v_cmp_eq_u32_e32 vcc_lo, 0x40f, v7
	s_wait_alu 0xfffd
	v_cndmask_b32_e32 v2, v8, v2, vcc_lo
	v_cmp_eq_u32_e32 vcc_lo, 0x40f, v9
	s_delay_alu instid0(VALU_DEP_2)
	v_and_or_b32 v2, 0x8000, v3, v2
	s_wait_alu 0xfffd
	v_cndmask_b32_e32 v4, v6, v4, vcc_lo
	v_add_co_u32 v0, vcc_lo, v0, s6
	s_wait_alu 0xfffd
	v_add_co_ci_u32_e32 v1, vcc_lo, s7, v1, vcc_lo
	s_delay_alu instid0(VALU_DEP_3) | instskip(SKIP_1) | instid1(VALU_DEP_1)
	v_and_or_b32 v3, 0x8000, v5, v4
	v_and_b32_e32 v2, 0xffff, v2
	v_lshl_or_b32 v2, v3, 16, v2
	global_store_b32 v[0:1], v2, off
	global_load_b32 v4, v[31:32], off offset:4240
	v_add_nc_u32_e32 v2, 0x1000, v54
	ds_load_2addr_b32 v[2:3], v2 offset0:36 offset1:196
	s_wait_dscnt 0x0
	v_lshrrev_b32_e32 v5, 16, v2
	s_wait_loadcnt 0x0
	v_lshrrev_b32_e32 v6, 16, v4
	s_delay_alu instid0(VALU_DEP_1) | instskip(SKIP_1) | instid1(VALU_DEP_2)
	v_mul_f16_e32 v7, v5, v6
	v_mul_f16_e32 v6, v2, v6
	v_fmac_f16_e32 v7, v2, v4
	s_delay_alu instid0(VALU_DEP_2) | instskip(NEXT) | instid1(VALU_DEP_2)
	v_fma_f16 v2, v4, v5, -v6
	v_cvt_f32_f16_e32 v4, v7
	s_delay_alu instid0(VALU_DEP_2) | instskip(NEXT) | instid1(VALU_DEP_2)
	v_cvt_f32_f16_e32 v2, v2
	v_cvt_f64_f32_e32 v[4:5], v4
	s_delay_alu instid0(VALU_DEP_2) | instskip(NEXT) | instid1(VALU_DEP_2)
	v_cvt_f64_f32_e32 v[6:7], v2
	v_mul_f64_e32 v[4:5], s[8:9], v[4:5]
	s_delay_alu instid0(VALU_DEP_2) | instskip(NEXT) | instid1(VALU_DEP_2)
	v_mul_f64_e32 v[6:7], s[8:9], v[6:7]
	v_and_or_b32 v2, 0x1ff, v5, v4
	s_delay_alu instid0(VALU_DEP_2)
	v_and_or_b32 v6, 0x1ff, v7, v6
	v_lshrrev_b32_e32 v4, 8, v5
	v_bfe_u32 v8, v5, 20, 11
	v_lshrrev_b32_e32 v9, 8, v7
	v_cmp_ne_u32_e32 vcc_lo, 0, v2
	v_bfe_u32 v10, v7, 20, 11
	v_lshrrev_b32_e32 v5, 16, v5
	v_sub_nc_u32_e32 v11, 0x3f1, v8
	v_add_nc_u32_e32 v8, 0xfffffc10, v8
	s_wait_alu 0xfffd
	v_cndmask_b32_e64 v2, 0, 1, vcc_lo
	v_cmp_ne_u32_e32 vcc_lo, 0, v6
	v_lshrrev_b32_e32 v7, 16, v7
	s_delay_alu instid0(VALU_DEP_3) | instskip(SKIP_4) | instid1(VALU_DEP_3)
	v_and_or_b32 v2, 0xffe, v4, v2
	s_wait_alu 0xfffd
	v_cndmask_b32_e64 v6, 0, 1, vcc_lo
	v_sub_nc_u32_e32 v4, 0x3f1, v10
	v_add_nc_u32_e32 v10, 0xfffffc10, v10
	v_and_or_b32 v6, 0xffe, v9, v6
	v_med3_i32 v9, v11, 0, 13
	v_or_b32_e32 v11, 0x1000, v2
	v_med3_i32 v4, v4, 0, 13
	s_delay_alu instid0(VALU_DEP_4) | instskip(NEXT) | instid1(VALU_DEP_3)
	v_or_b32_e32 v12, 0x1000, v6
	v_lshrrev_b32_e32 v13, v9, v11
	s_delay_alu instid0(VALU_DEP_2) | instskip(NEXT) | instid1(VALU_DEP_2)
	v_lshrrev_b32_e32 v14, v4, v12
	v_lshlrev_b32_e32 v9, v9, v13
	s_delay_alu instid0(VALU_DEP_2) | instskip(NEXT) | instid1(VALU_DEP_2)
	v_lshlrev_b32_e32 v4, v4, v14
	v_cmp_ne_u32_e32 vcc_lo, v9, v11
	v_lshl_or_b32 v11, v8, 12, v2
	s_wait_alu 0xfffd
	v_cndmask_b32_e64 v9, 0, 1, vcc_lo
	v_cmp_ne_u32_e32 vcc_lo, v4, v12
	v_lshl_or_b32 v12, v10, 12, v6
	s_delay_alu instid0(VALU_DEP_3) | instskip(SKIP_3) | instid1(VALU_DEP_2)
	v_or_b32_e32 v9, v13, v9
	s_wait_alu 0xfffd
	v_cndmask_b32_e64 v4, 0, 1, vcc_lo
	v_cmp_gt_i32_e32 vcc_lo, 1, v8
	v_or_b32_e32 v4, v14, v4
	s_wait_alu 0xfffd
	v_cndmask_b32_e32 v9, v11, v9, vcc_lo
	v_cmp_gt_i32_e32 vcc_lo, 1, v10
	s_wait_alu 0xfffd
	s_delay_alu instid0(VALU_DEP_2) | instskip(SKIP_2) | instid1(VALU_DEP_3)
	v_dual_cndmask_b32 v4, v12, v4 :: v_dual_and_b32 v11, 7, v9
	v_cmp_ne_u32_e32 vcc_lo, 0, v2
	v_lshrrev_b32_e32 v9, 2, v9
	v_cmp_eq_u32_e64 s0, 3, v11
	s_delay_alu instid0(VALU_DEP_4)
	v_and_b32_e32 v12, 7, v4
	s_wait_alu 0xfffd
	v_cndmask_b32_e64 v2, 0, 1, vcc_lo
	v_cmp_ne_u32_e32 vcc_lo, 0, v6
	v_lshrrev_b32_e32 v4, 2, v4
	v_cmp_lt_i32_e64 s1, 5, v12
	v_cmp_eq_u32_e64 s2, 3, v12
	s_wait_alu 0xfffd
	v_cndmask_b32_e64 v6, 0, 1, vcc_lo
	v_cmp_lt_i32_e32 vcc_lo, 5, v11
	v_lshl_or_b32 v2, v2, 9, 0x7c00
	s_delay_alu instid0(VALU_DEP_3)
	v_lshl_or_b32 v6, v6, 9, 0x7c00
	s_or_b32 vcc_lo, s0, vcc_lo
	s_wait_alu 0xfffe
	v_add_co_ci_u32_e32 v9, vcc_lo, 0, v9, vcc_lo
	s_or_b32 vcc_lo, s2, s1
	s_wait_alu 0xfffe
	v_add_co_ci_u32_e32 v4, vcc_lo, 0, v4, vcc_lo
	v_cmp_gt_i32_e32 vcc_lo, 31, v8
	s_wait_alu 0xfffd
	v_cndmask_b32_e32 v9, 0x7c00, v9, vcc_lo
	v_cmp_gt_i32_e32 vcc_lo, 31, v10
	s_wait_alu 0xfffd
	v_cndmask_b32_e32 v4, 0x7c00, v4, vcc_lo
	v_cmp_eq_u32_e32 vcc_lo, 0x40f, v8
	s_wait_alu 0xfffd
	v_cndmask_b32_e32 v2, v9, v2, vcc_lo
	v_cmp_eq_u32_e32 vcc_lo, 0x40f, v10
	s_delay_alu instid0(VALU_DEP_2)
	v_and_or_b32 v2, 0x8000, v5, v2
	s_wait_alu 0xfffd
	v_cndmask_b32_e32 v4, v4, v6, vcc_lo
	v_add_co_u32 v0, vcc_lo, v0, s6
	s_wait_alu 0xfffd
	v_add_co_ci_u32_e32 v1, vcc_lo, s7, v1, vcc_lo
	s_delay_alu instid0(VALU_DEP_3) | instskip(SKIP_1) | instid1(VALU_DEP_1)
	v_and_or_b32 v4, 0x8000, v7, v4
	v_and_b32_e32 v2, 0xffff, v2
	v_lshl_or_b32 v2, v4, 16, v2
	v_lshrrev_b32_e32 v4, 16, v3
	global_store_b32 v[0:1], v2, off
	global_load_b32 v2, v[31:32], off offset:4880
	s_wait_loadcnt 0x0
	v_lshrrev_b32_e32 v5, 16, v2
	s_delay_alu instid0(VALU_DEP_1) | instskip(SKIP_1) | instid1(VALU_DEP_2)
	v_mul_f16_e32 v6, v4, v5
	v_mul_f16_e32 v5, v3, v5
	v_fmac_f16_e32 v6, v3, v2
	s_delay_alu instid0(VALU_DEP_2) | instskip(NEXT) | instid1(VALU_DEP_2)
	v_fma_f16 v2, v2, v4, -v5
	v_cvt_f32_f16_e32 v3, v6
	s_delay_alu instid0(VALU_DEP_2) | instskip(NEXT) | instid1(VALU_DEP_2)
	v_cvt_f32_f16_e32 v4, v2
	v_cvt_f64_f32_e32 v[2:3], v3
	s_delay_alu instid0(VALU_DEP_2) | instskip(NEXT) | instid1(VALU_DEP_2)
	v_cvt_f64_f32_e32 v[4:5], v4
	v_mul_f64_e32 v[2:3], s[8:9], v[2:3]
	s_delay_alu instid0(VALU_DEP_2) | instskip(NEXT) | instid1(VALU_DEP_2)
	v_mul_f64_e32 v[4:5], s[8:9], v[4:5]
	v_and_or_b32 v2, 0x1ff, v3, v2
	s_delay_alu instid0(VALU_DEP_2)
	v_and_or_b32 v4, 0x1ff, v5, v4
	v_lshrrev_b32_e32 v6, 8, v3
	v_bfe_u32 v7, v3, 20, 11
	v_lshrrev_b32_e32 v8, 8, v5
	v_cmp_ne_u32_e32 vcc_lo, 0, v2
	v_bfe_u32 v9, v5, 20, 11
	v_lshrrev_b32_e32 v3, 16, v3
	v_sub_nc_u32_e32 v10, 0x3f1, v7
	v_add_nc_u32_e32 v7, 0xfffffc10, v7
	s_wait_alu 0xfffd
	v_cndmask_b32_e64 v2, 0, 1, vcc_lo
	v_cmp_ne_u32_e32 vcc_lo, 0, v4
	v_lshrrev_b32_e32 v5, 16, v5
	s_delay_alu instid0(VALU_DEP_3) | instskip(SKIP_4) | instid1(VALU_DEP_3)
	v_and_or_b32 v2, 0xffe, v6, v2
	s_wait_alu 0xfffd
	v_cndmask_b32_e64 v4, 0, 1, vcc_lo
	v_sub_nc_u32_e32 v6, 0x3f1, v9
	v_add_nc_u32_e32 v9, 0xfffffc10, v9
	v_and_or_b32 v4, 0xffe, v8, v4
	v_med3_i32 v8, v10, 0, 13
	v_or_b32_e32 v10, 0x1000, v2
	v_med3_i32 v6, v6, 0, 13
	s_delay_alu instid0(VALU_DEP_4) | instskip(NEXT) | instid1(VALU_DEP_3)
	v_or_b32_e32 v11, 0x1000, v4
	v_lshrrev_b32_e32 v12, v8, v10
	s_delay_alu instid0(VALU_DEP_2) | instskip(NEXT) | instid1(VALU_DEP_2)
	v_lshrrev_b32_e32 v13, v6, v11
	v_lshlrev_b32_e32 v8, v8, v12
	s_delay_alu instid0(VALU_DEP_2) | instskip(NEXT) | instid1(VALU_DEP_2)
	v_lshlrev_b32_e32 v6, v6, v13
	v_cmp_ne_u32_e32 vcc_lo, v8, v10
	v_lshl_or_b32 v10, v7, 12, v2
	s_wait_alu 0xfffd
	v_cndmask_b32_e64 v8, 0, 1, vcc_lo
	v_cmp_ne_u32_e32 vcc_lo, v6, v11
	v_lshl_or_b32 v11, v9, 12, v4
	s_delay_alu instid0(VALU_DEP_3) | instskip(SKIP_3) | instid1(VALU_DEP_2)
	v_or_b32_e32 v8, v12, v8
	s_wait_alu 0xfffd
	v_cndmask_b32_e64 v6, 0, 1, vcc_lo
	v_cmp_gt_i32_e32 vcc_lo, 1, v7
	v_or_b32_e32 v6, v13, v6
	s_wait_alu 0xfffd
	v_cndmask_b32_e32 v8, v10, v8, vcc_lo
	v_cmp_gt_i32_e32 vcc_lo, 1, v9
	s_delay_alu instid0(VALU_DEP_2)
	v_and_b32_e32 v10, 7, v8
	s_wait_alu 0xfffd
	v_cndmask_b32_e32 v6, v11, v6, vcc_lo
	v_cmp_ne_u32_e32 vcc_lo, 0, v2
	v_lshrrev_b32_e32 v8, 2, v8
	v_cmp_eq_u32_e64 s0, 3, v10
	s_delay_alu instid0(VALU_DEP_4)
	v_and_b32_e32 v11, 7, v6
	s_wait_alu 0xfffd
	v_cndmask_b32_e64 v2, 0, 1, vcc_lo
	v_cmp_ne_u32_e32 vcc_lo, 0, v4
	v_lshrrev_b32_e32 v6, 2, v6
	v_cmp_lt_i32_e64 s1, 5, v11
	v_cmp_eq_u32_e64 s2, 3, v11
	s_wait_alu 0xfffd
	v_cndmask_b32_e64 v4, 0, 1, vcc_lo
	v_cmp_lt_i32_e32 vcc_lo, 5, v10
	v_lshl_or_b32 v2, v2, 9, 0x7c00
	s_delay_alu instid0(VALU_DEP_3)
	v_lshl_or_b32 v4, v4, 9, 0x7c00
	s_or_b32 vcc_lo, s0, vcc_lo
	s_wait_alu 0xfffe
	v_add_co_ci_u32_e32 v8, vcc_lo, 0, v8, vcc_lo
	s_or_b32 vcc_lo, s2, s1
	s_wait_alu 0xfffe
	v_add_co_ci_u32_e32 v6, vcc_lo, 0, v6, vcc_lo
	v_cmp_gt_i32_e32 vcc_lo, 31, v7
	s_wait_alu 0xfffd
	v_cndmask_b32_e32 v8, 0x7c00, v8, vcc_lo
	v_cmp_gt_i32_e32 vcc_lo, 31, v9
	s_wait_alu 0xfffd
	v_cndmask_b32_e32 v6, 0x7c00, v6, vcc_lo
	v_cmp_eq_u32_e32 vcc_lo, 0x40f, v7
	s_wait_alu 0xfffd
	v_cndmask_b32_e32 v2, v8, v2, vcc_lo
	v_cmp_eq_u32_e32 vcc_lo, 0x40f, v9
	s_delay_alu instid0(VALU_DEP_2)
	v_and_or_b32 v2, 0x8000, v3, v2
	s_wait_alu 0xfffd
	v_cndmask_b32_e32 v4, v6, v4, vcc_lo
	v_add_co_u32 v0, vcc_lo, v0, s6
	s_wait_alu 0xfffd
	v_add_co_ci_u32_e32 v1, vcc_lo, s7, v1, vcc_lo
	s_delay_alu instid0(VALU_DEP_3) | instskip(SKIP_1) | instid1(VALU_DEP_1)
	v_and_or_b32 v3, 0x8000, v5, v4
	v_and_b32_e32 v2, 0xffff, v2
	v_lshl_or_b32 v2, v3, 16, v2
	global_store_b32 v[0:1], v2, off
	global_load_b32 v4, v[31:32], off offset:5520
	v_add_nc_u32_e32 v2, 0x1500, v54
	ds_load_2addr_b32 v[2:3], v2 offset0:36 offset1:196
	s_wait_dscnt 0x0
	v_lshrrev_b32_e32 v5, 16, v2
	s_wait_loadcnt 0x0
	v_lshrrev_b32_e32 v6, 16, v4
	s_delay_alu instid0(VALU_DEP_1) | instskip(SKIP_1) | instid1(VALU_DEP_2)
	v_mul_f16_e32 v7, v5, v6
	v_mul_f16_e32 v6, v2, v6
	v_fmac_f16_e32 v7, v2, v4
	s_delay_alu instid0(VALU_DEP_2) | instskip(NEXT) | instid1(VALU_DEP_2)
	v_fma_f16 v2, v4, v5, -v6
	v_cvt_f32_f16_e32 v4, v7
	s_delay_alu instid0(VALU_DEP_2) | instskip(NEXT) | instid1(VALU_DEP_2)
	v_cvt_f32_f16_e32 v2, v2
	v_cvt_f64_f32_e32 v[4:5], v4
	s_delay_alu instid0(VALU_DEP_2) | instskip(NEXT) | instid1(VALU_DEP_2)
	v_cvt_f64_f32_e32 v[6:7], v2
	v_mul_f64_e32 v[4:5], s[8:9], v[4:5]
	s_delay_alu instid0(VALU_DEP_2) | instskip(NEXT) | instid1(VALU_DEP_2)
	v_mul_f64_e32 v[6:7], s[8:9], v[6:7]
	v_and_or_b32 v2, 0x1ff, v5, v4
	s_delay_alu instid0(VALU_DEP_2)
	v_and_or_b32 v6, 0x1ff, v7, v6
	v_lshrrev_b32_e32 v4, 8, v5
	v_bfe_u32 v8, v5, 20, 11
	v_lshrrev_b32_e32 v9, 8, v7
	v_cmp_ne_u32_e32 vcc_lo, 0, v2
	v_bfe_u32 v10, v7, 20, 11
	v_lshrrev_b32_e32 v5, 16, v5
	v_sub_nc_u32_e32 v11, 0x3f1, v8
	v_add_nc_u32_e32 v8, 0xfffffc10, v8
	s_wait_alu 0xfffd
	v_cndmask_b32_e64 v2, 0, 1, vcc_lo
	v_cmp_ne_u32_e32 vcc_lo, 0, v6
	v_lshrrev_b32_e32 v7, 16, v7
	s_delay_alu instid0(VALU_DEP_3) | instskip(SKIP_4) | instid1(VALU_DEP_3)
	v_and_or_b32 v2, 0xffe, v4, v2
	s_wait_alu 0xfffd
	v_cndmask_b32_e64 v6, 0, 1, vcc_lo
	v_sub_nc_u32_e32 v4, 0x3f1, v10
	v_add_nc_u32_e32 v10, 0xfffffc10, v10
	v_and_or_b32 v6, 0xffe, v9, v6
	v_med3_i32 v9, v11, 0, 13
	v_or_b32_e32 v11, 0x1000, v2
	v_med3_i32 v4, v4, 0, 13
	s_delay_alu instid0(VALU_DEP_4) | instskip(NEXT) | instid1(VALU_DEP_3)
	v_or_b32_e32 v12, 0x1000, v6
	v_lshrrev_b32_e32 v13, v9, v11
	s_delay_alu instid0(VALU_DEP_2) | instskip(NEXT) | instid1(VALU_DEP_2)
	v_lshrrev_b32_e32 v14, v4, v12
	v_lshlrev_b32_e32 v9, v9, v13
	s_delay_alu instid0(VALU_DEP_2) | instskip(NEXT) | instid1(VALU_DEP_2)
	v_lshlrev_b32_e32 v4, v4, v14
	v_cmp_ne_u32_e32 vcc_lo, v9, v11
	v_lshl_or_b32 v11, v8, 12, v2
	s_wait_alu 0xfffd
	v_cndmask_b32_e64 v9, 0, 1, vcc_lo
	v_cmp_ne_u32_e32 vcc_lo, v4, v12
	v_lshl_or_b32 v12, v10, 12, v6
	s_delay_alu instid0(VALU_DEP_3) | instskip(SKIP_3) | instid1(VALU_DEP_2)
	v_or_b32_e32 v9, v13, v9
	s_wait_alu 0xfffd
	v_cndmask_b32_e64 v4, 0, 1, vcc_lo
	v_cmp_gt_i32_e32 vcc_lo, 1, v8
	v_or_b32_e32 v4, v14, v4
	s_wait_alu 0xfffd
	v_cndmask_b32_e32 v9, v11, v9, vcc_lo
	v_cmp_gt_i32_e32 vcc_lo, 1, v10
	s_wait_alu 0xfffd
	s_delay_alu instid0(VALU_DEP_2) | instskip(SKIP_2) | instid1(VALU_DEP_3)
	v_dual_cndmask_b32 v4, v12, v4 :: v_dual_and_b32 v11, 7, v9
	v_cmp_ne_u32_e32 vcc_lo, 0, v2
	v_lshrrev_b32_e32 v9, 2, v9
	v_cmp_eq_u32_e64 s0, 3, v11
	s_delay_alu instid0(VALU_DEP_4)
	v_and_b32_e32 v12, 7, v4
	s_wait_alu 0xfffd
	v_cndmask_b32_e64 v2, 0, 1, vcc_lo
	v_cmp_ne_u32_e32 vcc_lo, 0, v6
	v_lshrrev_b32_e32 v4, 2, v4
	v_cmp_lt_i32_e64 s1, 5, v12
	v_cmp_eq_u32_e64 s2, 3, v12
	s_wait_alu 0xfffd
	v_cndmask_b32_e64 v6, 0, 1, vcc_lo
	v_cmp_lt_i32_e32 vcc_lo, 5, v11
	v_lshl_or_b32 v2, v2, 9, 0x7c00
	s_delay_alu instid0(VALU_DEP_3)
	v_lshl_or_b32 v6, v6, 9, 0x7c00
	s_or_b32 vcc_lo, s0, vcc_lo
	s_wait_alu 0xfffe
	v_add_co_ci_u32_e32 v9, vcc_lo, 0, v9, vcc_lo
	s_or_b32 vcc_lo, s2, s1
	s_wait_alu 0xfffe
	v_add_co_ci_u32_e32 v4, vcc_lo, 0, v4, vcc_lo
	v_cmp_gt_i32_e32 vcc_lo, 31, v8
	s_wait_alu 0xfffd
	v_cndmask_b32_e32 v9, 0x7c00, v9, vcc_lo
	v_cmp_gt_i32_e32 vcc_lo, 31, v10
	s_wait_alu 0xfffd
	v_cndmask_b32_e32 v4, 0x7c00, v4, vcc_lo
	v_cmp_eq_u32_e32 vcc_lo, 0x40f, v8
	s_wait_alu 0xfffd
	v_cndmask_b32_e32 v2, v9, v2, vcc_lo
	v_cmp_eq_u32_e32 vcc_lo, 0x40f, v10
	s_delay_alu instid0(VALU_DEP_2)
	v_and_or_b32 v2, 0x8000, v5, v2
	s_wait_alu 0xfffd
	v_cndmask_b32_e32 v4, v4, v6, vcc_lo
	v_add_co_u32 v0, vcc_lo, v0, s6
	s_wait_alu 0xfffd
	v_add_co_ci_u32_e32 v1, vcc_lo, s7, v1, vcc_lo
	s_delay_alu instid0(VALU_DEP_3) | instskip(SKIP_1) | instid1(VALU_DEP_1)
	v_and_or_b32 v4, 0x8000, v7, v4
	v_and_b32_e32 v2, 0xffff, v2
	v_lshl_or_b32 v2, v4, 16, v2
	v_lshrrev_b32_e32 v4, 16, v3
	global_store_b32 v[0:1], v2, off
	global_load_b32 v2, v[31:32], off offset:6160
	s_wait_loadcnt 0x0
	v_lshrrev_b32_e32 v5, 16, v2
	s_delay_alu instid0(VALU_DEP_1) | instskip(SKIP_1) | instid1(VALU_DEP_2)
	v_mul_f16_e32 v6, v4, v5
	v_mul_f16_e32 v5, v3, v5
	v_fmac_f16_e32 v6, v3, v2
	s_delay_alu instid0(VALU_DEP_2) | instskip(NEXT) | instid1(VALU_DEP_2)
	v_fma_f16 v2, v2, v4, -v5
	v_cvt_f32_f16_e32 v3, v6
	s_delay_alu instid0(VALU_DEP_2) | instskip(NEXT) | instid1(VALU_DEP_2)
	v_cvt_f32_f16_e32 v4, v2
	v_cvt_f64_f32_e32 v[2:3], v3
	s_delay_alu instid0(VALU_DEP_2) | instskip(NEXT) | instid1(VALU_DEP_2)
	v_cvt_f64_f32_e32 v[4:5], v4
	v_mul_f64_e32 v[2:3], s[8:9], v[2:3]
	s_delay_alu instid0(VALU_DEP_2) | instskip(NEXT) | instid1(VALU_DEP_2)
	v_mul_f64_e32 v[4:5], s[8:9], v[4:5]
	v_and_or_b32 v2, 0x1ff, v3, v2
	s_delay_alu instid0(VALU_DEP_2)
	v_and_or_b32 v4, 0x1ff, v5, v4
	v_lshrrev_b32_e32 v6, 8, v3
	v_bfe_u32 v7, v3, 20, 11
	v_lshrrev_b32_e32 v8, 8, v5
	v_cmp_ne_u32_e32 vcc_lo, 0, v2
	v_bfe_u32 v9, v5, 20, 11
	v_lshrrev_b32_e32 v3, 16, v3
	v_sub_nc_u32_e32 v10, 0x3f1, v7
	v_add_nc_u32_e32 v7, 0xfffffc10, v7
	s_wait_alu 0xfffd
	v_cndmask_b32_e64 v2, 0, 1, vcc_lo
	v_cmp_ne_u32_e32 vcc_lo, 0, v4
	v_lshrrev_b32_e32 v5, 16, v5
	s_delay_alu instid0(VALU_DEP_3) | instskip(SKIP_4) | instid1(VALU_DEP_3)
	v_and_or_b32 v2, 0xffe, v6, v2
	s_wait_alu 0xfffd
	v_cndmask_b32_e64 v4, 0, 1, vcc_lo
	v_sub_nc_u32_e32 v6, 0x3f1, v9
	v_add_nc_u32_e32 v9, 0xfffffc10, v9
	v_and_or_b32 v4, 0xffe, v8, v4
	v_med3_i32 v8, v10, 0, 13
	v_or_b32_e32 v10, 0x1000, v2
	v_med3_i32 v6, v6, 0, 13
	s_delay_alu instid0(VALU_DEP_4) | instskip(NEXT) | instid1(VALU_DEP_3)
	v_or_b32_e32 v11, 0x1000, v4
	v_lshrrev_b32_e32 v12, v8, v10
	s_delay_alu instid0(VALU_DEP_2) | instskip(NEXT) | instid1(VALU_DEP_2)
	v_lshrrev_b32_e32 v13, v6, v11
	v_lshlrev_b32_e32 v8, v8, v12
	s_delay_alu instid0(VALU_DEP_2) | instskip(NEXT) | instid1(VALU_DEP_2)
	v_lshlrev_b32_e32 v6, v6, v13
	v_cmp_ne_u32_e32 vcc_lo, v8, v10
	v_lshl_or_b32 v10, v7, 12, v2
	s_wait_alu 0xfffd
	v_cndmask_b32_e64 v8, 0, 1, vcc_lo
	v_cmp_ne_u32_e32 vcc_lo, v6, v11
	v_lshl_or_b32 v11, v9, 12, v4
	s_delay_alu instid0(VALU_DEP_3) | instskip(SKIP_3) | instid1(VALU_DEP_2)
	v_or_b32_e32 v8, v12, v8
	s_wait_alu 0xfffd
	v_cndmask_b32_e64 v6, 0, 1, vcc_lo
	v_cmp_gt_i32_e32 vcc_lo, 1, v7
	v_or_b32_e32 v6, v13, v6
	s_wait_alu 0xfffd
	v_cndmask_b32_e32 v8, v10, v8, vcc_lo
	v_cmp_gt_i32_e32 vcc_lo, 1, v9
	s_delay_alu instid0(VALU_DEP_2)
	v_and_b32_e32 v10, 7, v8
	s_wait_alu 0xfffd
	v_cndmask_b32_e32 v6, v11, v6, vcc_lo
	v_cmp_ne_u32_e32 vcc_lo, 0, v2
	v_lshrrev_b32_e32 v8, 2, v8
	v_cmp_eq_u32_e64 s0, 3, v10
	s_delay_alu instid0(VALU_DEP_4)
	v_and_b32_e32 v11, 7, v6
	s_wait_alu 0xfffd
	v_cndmask_b32_e64 v2, 0, 1, vcc_lo
	v_cmp_ne_u32_e32 vcc_lo, 0, v4
	v_lshrrev_b32_e32 v6, 2, v6
	v_cmp_lt_i32_e64 s1, 5, v11
	v_cmp_eq_u32_e64 s2, 3, v11
	s_wait_alu 0xfffd
	v_cndmask_b32_e64 v4, 0, 1, vcc_lo
	v_cmp_lt_i32_e32 vcc_lo, 5, v10
	v_lshl_or_b32 v2, v2, 9, 0x7c00
	s_delay_alu instid0(VALU_DEP_3)
	v_lshl_or_b32 v4, v4, 9, 0x7c00
	s_or_b32 vcc_lo, s0, vcc_lo
	s_wait_alu 0xfffe
	v_add_co_ci_u32_e32 v8, vcc_lo, 0, v8, vcc_lo
	s_or_b32 vcc_lo, s2, s1
	s_wait_alu 0xfffe
	v_add_co_ci_u32_e32 v6, vcc_lo, 0, v6, vcc_lo
	v_cmp_gt_i32_e32 vcc_lo, 31, v7
	s_wait_alu 0xfffd
	v_cndmask_b32_e32 v8, 0x7c00, v8, vcc_lo
	v_cmp_gt_i32_e32 vcc_lo, 31, v9
	s_wait_alu 0xfffd
	v_cndmask_b32_e32 v6, 0x7c00, v6, vcc_lo
	v_cmp_eq_u32_e32 vcc_lo, 0x40f, v7
	s_wait_alu 0xfffd
	v_cndmask_b32_e32 v2, v8, v2, vcc_lo
	v_cmp_eq_u32_e32 vcc_lo, 0x40f, v9
	s_delay_alu instid0(VALU_DEP_2)
	v_and_or_b32 v2, 0x8000, v3, v2
	s_wait_alu 0xfffd
	v_cndmask_b32_e32 v4, v6, v4, vcc_lo
	v_add_co_u32 v0, vcc_lo, v0, s6
	s_wait_alu 0xfffd
	v_add_co_ci_u32_e32 v1, vcc_lo, s7, v1, vcc_lo
	s_delay_alu instid0(VALU_DEP_3) | instskip(SKIP_1) | instid1(VALU_DEP_1)
	v_and_or_b32 v3, 0x8000, v5, v4
	v_and_b32_e32 v2, 0xffff, v2
	v_lshl_or_b32 v2, v3, 16, v2
	global_store_b32 v[0:1], v2, off
.LBB0_23:
	s_nop 0
	s_sendmsg sendmsg(MSG_DEALLOC_VGPRS)
	s_endpgm
	.section	.rodata,"a",@progbits
	.p2align	6, 0x0
	.amdhsa_kernel bluestein_single_fwd_len1600_dim1_half_op_CI_CI
		.amdhsa_group_segment_fixed_size 12800
		.amdhsa_private_segment_fixed_size 0
		.amdhsa_kernarg_size 104
		.amdhsa_user_sgpr_count 2
		.amdhsa_user_sgpr_dispatch_ptr 0
		.amdhsa_user_sgpr_queue_ptr 0
		.amdhsa_user_sgpr_kernarg_segment_ptr 1
		.amdhsa_user_sgpr_dispatch_id 0
		.amdhsa_user_sgpr_private_segment_size 0
		.amdhsa_wavefront_size32 1
		.amdhsa_uses_dynamic_stack 0
		.amdhsa_enable_private_segment 0
		.amdhsa_system_sgpr_workgroup_id_x 1
		.amdhsa_system_sgpr_workgroup_id_y 0
		.amdhsa_system_sgpr_workgroup_id_z 0
		.amdhsa_system_sgpr_workgroup_info 0
		.amdhsa_system_vgpr_workitem_id 0
		.amdhsa_next_free_vgpr 193
		.amdhsa_next_free_sgpr 18
		.amdhsa_reserve_vcc 1
		.amdhsa_float_round_mode_32 0
		.amdhsa_float_round_mode_16_64 0
		.amdhsa_float_denorm_mode_32 3
		.amdhsa_float_denorm_mode_16_64 3
		.amdhsa_fp16_overflow 0
		.amdhsa_workgroup_processor_mode 1
		.amdhsa_memory_ordered 1
		.amdhsa_forward_progress 0
		.amdhsa_round_robin_scheduling 0
		.amdhsa_exception_fp_ieee_invalid_op 0
		.amdhsa_exception_fp_denorm_src 0
		.amdhsa_exception_fp_ieee_div_zero 0
		.amdhsa_exception_fp_ieee_overflow 0
		.amdhsa_exception_fp_ieee_underflow 0
		.amdhsa_exception_fp_ieee_inexact 0
		.amdhsa_exception_int_div_zero 0
	.end_amdhsa_kernel
	.text
.Lfunc_end0:
	.size	bluestein_single_fwd_len1600_dim1_half_op_CI_CI, .Lfunc_end0-bluestein_single_fwd_len1600_dim1_half_op_CI_CI
                                        ; -- End function
	.section	.AMDGPU.csdata,"",@progbits
; Kernel info:
; codeLenInByte = 34208
; NumSgprs: 20
; NumVgprs: 193
; ScratchSize: 0
; MemoryBound: 0
; FloatMode: 240
; IeeeMode: 1
; LDSByteSize: 12800 bytes/workgroup (compile time only)
; SGPRBlocks: 2
; VGPRBlocks: 24
; NumSGPRsForWavesPerEU: 20
; NumVGPRsForWavesPerEU: 193
; Occupancy: 7
; WaveLimiterHint : 1
; COMPUTE_PGM_RSRC2:SCRATCH_EN: 0
; COMPUTE_PGM_RSRC2:USER_SGPR: 2
; COMPUTE_PGM_RSRC2:TRAP_HANDLER: 0
; COMPUTE_PGM_RSRC2:TGID_X_EN: 1
; COMPUTE_PGM_RSRC2:TGID_Y_EN: 0
; COMPUTE_PGM_RSRC2:TGID_Z_EN: 0
; COMPUTE_PGM_RSRC2:TIDIG_COMP_CNT: 0
	.text
	.p2alignl 7, 3214868480
	.fill 96, 4, 3214868480
	.type	__hip_cuid_e69e2692a73c5582,@object ; @__hip_cuid_e69e2692a73c5582
	.section	.bss,"aw",@nobits
	.globl	__hip_cuid_e69e2692a73c5582
__hip_cuid_e69e2692a73c5582:
	.byte	0                               ; 0x0
	.size	__hip_cuid_e69e2692a73c5582, 1

	.ident	"AMD clang version 19.0.0git (https://github.com/RadeonOpenCompute/llvm-project roc-6.4.0 25133 c7fe45cf4b819c5991fe208aaa96edf142730f1d)"
	.section	".note.GNU-stack","",@progbits
	.addrsig
	.addrsig_sym __hip_cuid_e69e2692a73c5582
	.amdgpu_metadata
---
amdhsa.kernels:
  - .args:
      - .actual_access:  read_only
        .address_space:  global
        .offset:         0
        .size:           8
        .value_kind:     global_buffer
      - .actual_access:  read_only
        .address_space:  global
        .offset:         8
        .size:           8
        .value_kind:     global_buffer
      - .actual_access:  read_only
        .address_space:  global
        .offset:         16
        .size:           8
        .value_kind:     global_buffer
      - .actual_access:  read_only
        .address_space:  global
        .offset:         24
        .size:           8
        .value_kind:     global_buffer
      - .actual_access:  read_only
        .address_space:  global
        .offset:         32
        .size:           8
        .value_kind:     global_buffer
      - .offset:         40
        .size:           8
        .value_kind:     by_value
      - .address_space:  global
        .offset:         48
        .size:           8
        .value_kind:     global_buffer
      - .address_space:  global
        .offset:         56
        .size:           8
        .value_kind:     global_buffer
      - .address_space:  global
        .offset:         64
        .size:           8
        .value_kind:     global_buffer
      - .address_space:  global
        .offset:         72
        .size:           8
        .value_kind:     global_buffer
      - .offset:         80
        .size:           4
        .value_kind:     by_value
      - .address_space:  global
        .offset:         88
        .size:           8
        .value_kind:     global_buffer
      - .address_space:  global
        .offset:         96
        .size:           8
        .value_kind:     global_buffer
    .group_segment_fixed_size: 12800
    .kernarg_segment_align: 8
    .kernarg_segment_size: 104
    .language:       OpenCL C
    .language_version:
      - 2
      - 0
    .max_flat_workgroup_size: 200
    .name:           bluestein_single_fwd_len1600_dim1_half_op_CI_CI
    .private_segment_fixed_size: 0
    .sgpr_count:     20
    .sgpr_spill_count: 0
    .symbol:         bluestein_single_fwd_len1600_dim1_half_op_CI_CI.kd
    .uniform_work_group_size: 1
    .uses_dynamic_stack: false
    .vgpr_count:     193
    .vgpr_spill_count: 0
    .wavefront_size: 32
    .workgroup_processor_mode: 1
amdhsa.target:   amdgcn-amd-amdhsa--gfx1201
amdhsa.version:
  - 1
  - 2
...

	.end_amdgpu_metadata
